;; amdgpu-corpus repo=ROCm/rocBLAS kind=compiled arch=gfx950 opt=O3
	.amdgcn_target "amdgcn-amd-amdhsa--gfx950"
	.amdhsa_code_object_version 6
	.section	.text._ZL19rocblas_hpr2_kernelILi64ELi16ELi2EPK19rocblas_complex_numIfES3_PS1_EvbiT2_T3_lllS6_lllT4_lli,"axG",@progbits,_ZL19rocblas_hpr2_kernelILi64ELi16ELi2EPK19rocblas_complex_numIfES3_PS1_EvbiT2_T3_lllS6_lllT4_lli,comdat
	.globl	_ZL19rocblas_hpr2_kernelILi64ELi16ELi2EPK19rocblas_complex_numIfES3_PS1_EvbiT2_T3_lllS6_lllT4_lli ; -- Begin function _ZL19rocblas_hpr2_kernelILi64ELi16ELi2EPK19rocblas_complex_numIfES3_PS1_EvbiT2_T3_lllS6_lllT4_lli
	.p2align	8
	.type	_ZL19rocblas_hpr2_kernelILi64ELi16ELi2EPK19rocblas_complex_numIfES3_PS1_EvbiT2_T3_lllS6_lllT4_lli,@function
_ZL19rocblas_hpr2_kernelILi64ELi16ELi2EPK19rocblas_complex_numIfES3_PS1_EvbiT2_T3_lllS6_lllT4_lli: ; @_ZL19rocblas_hpr2_kernelILi64ELi16ELi2EPK19rocblas_complex_numIfES3_PS1_EvbiT2_T3_lllS6_lllT4_lli
; %bb.0:
	s_load_dwordx16 s[8:23], s[0:1], 0x8
	s_waitcnt lgkmcnt(0)
	s_load_dwordx2 s[6:7], s[8:9], 0x0
	s_waitcnt lgkmcnt(0)
	v_cmp_neq_f32_e64 s[8:9], s6, 0
	v_cmp_neq_f32_e64 s[24:25], s7, 0
	s_or_b64 s[8:9], s[8:9], s[24:25]
	s_andn2_b64 vcc, exec, s[8:9]
	s_cbranch_vccnz .LBB0_22
; %bb.1:
	s_load_dwordx2 s[24:25], s[0:1], 0x0
	v_and_b32_e32 v1, 0x3ff, v0
	v_bfe_u32 v0, v0, 10, 10
	s_mov_b64 s[8:9], -1
	v_lshl_add_u32 v3, s2, 7, v1
	s_waitcnt lgkmcnt(0)
	s_bitcmp1_b32 s24, 0
	s_cselect_b64 s[26:27], -1, 0
	s_xor_b64 s[26:27], s[26:27], -1
	v_lshl_add_u32 v2, s3, 4, v0
	s_and_b64 vcc, exec, s[26:27]
                                        ; implicit-def: $vgpr0
	s_cbranch_vccz .LBB0_3
; %bb.2:
	s_lshl_b32 s2, s25, 1
	v_sub_u32_e32 v0, s2, v2
	v_mad_u64_u32 v[0:1], s[2:3], v2, v0, v[2:3]
	v_lshrrev_b32_e32 v1, 31, v0
	v_add_u32_e32 v0, v0, v1
	v_ashrrev_i32_e32 v0, 1, v0
	v_sub_u32_e32 v1, v3, v2
	v_add_u32_e32 v0, v1, v0
	s_mov_b64 s[8:9], 0
.LBB0_3:
	s_andn2_b64 vcc, exec, s[8:9]
	s_cbranch_vccnz .LBB0_5
; %bb.4:
	v_mad_u64_u32 v[0:1], s[2:3], v2, v2, v[2:3]
	v_lshrrev_b32_e32 v1, 31, v0
	v_add_u32_e32 v0, v0, v1
	v_ashrrev_i32_e32 v0, 1, v0
	v_add_u32_e32 v0, v0, v3
.LBB0_5:
	s_load_dwordx8 s[36:43], s[0:1], 0x48
	s_mul_i32 s0, s17, s4
	s_mul_hi_u32 s1, s16, s4
	s_add_i32 s1, s1, s0
	s_mul_i32 s0, s16, s4
	s_lshl_b64 s[0:1], s[0:1], 3
	s_add_u32 s2, s10, s0
	s_addc_u32 s3, s11, s1
	s_lshl_b64 s[0:1], s[12:13], 3
	s_add_u32 s8, s2, s0
	s_addc_u32 s9, s3, s1
	s_waitcnt lgkmcnt(0)
	s_mul_i32 s0, s37, s4
	s_mul_hi_u32 s1, s36, s4
	s_add_i32 s1, s1, s0
	s_mul_i32 s0, s36, s4
	s_lshl_b64 s[0:1], s[0:1], 3
	s_add_u32 s2, s18, s0
	s_addc_u32 s3, s19, s1
	s_lshl_b64 s[0:1], s[20:21], 3
	s_add_u32 s10, s2, s0
	s_addc_u32 s11, s3, s1
	s_mul_i32 s0, s43, s4
	s_mul_hi_u32 s1, s42, s4
	s_add_i32 s1, s1, s0
	s_mul_i32 s0, s42, s4
	s_lshl_b64 s[0:1], s[0:1], 3
	s_add_u32 s2, s38, s0
	s_addc_u32 s3, s39, s1
	s_lshl_b64 s[0:1], s[40:41], 3
	s_add_u32 s4, s2, s0
	v_ashrrev_i32_e32 v1, 31, v2
	s_addc_u32 s5, s3, s1
	v_mul_lo_u32 v6, s23, v2
	v_mul_lo_u32 v7, s22, v1
	v_mad_u64_u32 v[4:5], s[2:3], s22, v2, 0
	v_add3_u32 v5, v5, v7, v6
	v_mul_lo_u32 v8, s15, v2
	v_mul_lo_u32 v1, s14, v1
	v_mad_u64_u32 v[6:7], s[2:3], s14, v2, 0
	v_cmp_gt_i32_e64 s[0:1], s25, v2
	v_add3_u32 v7, v7, v1, v8
	s_and_b64 vcc, exec, s[26:27]
	s_cbranch_vccz .LBB0_7
; %bb.6:
	v_cmp_le_i32_e32 vcc, s25, v3
	v_cmp_le_i32_e64 s[2:3], v3, v2
	s_or_b64 s[2:3], s[2:3], vcc
	s_mov_b64 s[16:17], -1
	s_and_b64 s[2:3], s[2:3], exec
	s_cbranch_execz .LBB0_8
	s_branch .LBB0_9
.LBB0_7:
	s_mov_b64 s[2:3], 0
	s_mov_b64 s[16:17], 0
.LBB0_8:
	v_cmp_lt_i32_e32 vcc, v3, v2
	s_and_b64 s[12:13], vcc, s[0:1]
	s_xor_b64 s[18:19], s[12:13], -1
	s_andn2_b64 s[16:17], s[16:17], exec
	s_and_b64 s[12:13], s[12:13], exec
	s_or_b64 s[16:17], s[16:17], s[12:13]
	s_andn2_b64 s[2:3], s[2:3], exec
	s_and_b64 s[12:13], s[18:19], exec
	s_or_b64 s[2:3], s[2:3], s[12:13]
.LBB0_9:
	s_mov_b32 s12, s7
	s_mov_b32 s13, s6
	v_lshl_add_u64 v[4:5], v[4:5], 3, s[10:11]
	v_lshl_add_u64 v[6:7], v[6:7], 3, s[8:9]
	s_and_saveexec_b64 s[18:19], s[2:3]
	s_xor_b64 s[18:19], exec, s[18:19]
	s_cbranch_execz .LBB0_13
; %bb.10:
	v_cmp_eq_u32_e32 vcc, v3, v2
	v_cmp_gt_i32_e64 s[2:3], s25, v3
	s_and_b64 s[20:21], vcc, s[2:3]
	s_and_saveexec_b64 s[2:3], s[20:21]
	s_cbranch_execz .LBB0_12
; %bb.11:
	v_ashrrev_i32_e32 v1, 31, v3
	v_mul_lo_u32 v10, s15, v3
	v_mul_lo_u32 v11, s14, v1
	v_mad_u64_u32 v[8:9], s[20:21], s14, v3, 0
	v_add3_u32 v9, v9, v11, v10
	v_lshl_add_u64 v[8:9], v[8:9], 3, s[8:9]
	global_load_dwordx2 v[8:9], v[8:9], off
	v_mul_lo_u32 v12, s23, v3
	v_mul_lo_u32 v1, s22, v1
	v_mad_u64_u32 v[10:11], s[20:21], s22, v3, 0
	v_add3_u32 v11, v11, v1, v12
	v_lshl_add_u64 v[10:11], v[10:11], 3, s[10:11]
	global_load_dwordx2 v[12:13], v[10:11], off
	global_load_dwordx2 v[14:15], v[4:5], off
	;; [unrolled: 1-line block ×3, first 2 shown]
	v_ashrrev_i32_e32 v1, 31, v0
	v_lshl_add_u64 v[10:11], v[0:1], 3, s[4:5]
	global_load_dword v1, v[10:11], off
	s_waitcnt vmcnt(4)
	v_pk_mul_f32 v[18:19], s[6:7], v[8:9] op_sel:[0,1]
	s_nop 0
	v_pk_fma_f32 v[22:23], s[12:13], v[8:9], v[18:19] op_sel_hi:[1,0,1]
	v_pk_fma_f32 v[8:9], s[12:13], v[8:9], v[18:19] op_sel_hi:[1,0,1] neg_lo:[0,0,1] neg_hi:[0,0,1]
	s_waitcnt vmcnt(3)
	v_pk_mul_f32 v[20:21], s[6:7], v[12:13]
	v_pk_mul_f32 v[12:13], s[6:7], v[12:13] op_sel:[0,1] op_sel_hi:[1,0]
	v_pk_add_f32 v[18:19], v[20:21], v[20:21] op_sel:[0,1] op_sel_hi:[0,1]
	v_mov_b32_e32 v21, v9
	v_pk_mov_b32 v[8:9], v[8:9], v[22:23] op_sel:[1,0]
	v_pk_add_f32 v[12:13], v[12:13], v[12:13] op_sel:[0,1] op_sel_hi:[0,1] neg_lo:[0,1] neg_hi:[0,1]
	v_mov_b32_e32 v20, v22
	s_waitcnt vmcnt(2)
	v_mul_f32_e32 v22, v14, v22
	s_waitcnt vmcnt(1)
	v_pk_mul_f32 v[18:19], v[16:17], v[18:19]
	v_pk_mul_f32 v[8:9], v[14:15], v[8:9]
	v_pk_fma_f32 v[14:15], v[14:15], v[20:21], v[22:23] op_sel_hi:[1,1,0] neg_lo:[1,0,0] neg_hi:[1,0,0]
	v_pk_fma_f32 v[20:21], v[16:17], v[12:13], v[18:19] op_sel:[1,0,0] op_sel_hi:[0,1,1]
	v_pk_fma_f32 v[12:13], v[16:17], v[12:13], v[18:19] op_sel:[1,0,0] op_sel_hi:[0,1,1] neg_lo:[0,0,1] neg_hi:[0,0,1]
	v_add_f32_e32 v8, v8, v9
	s_waitcnt vmcnt(0)
	v_add_f32_e32 v14, v1, v8
	v_mov_b32_e32 v21, v13
	v_pk_add_f32 v[8:9], v[14:15], v[20:21]
	global_store_dwordx2 v[10:11], v[8:9], off
.LBB0_12:
	s_or_b64 exec, exec, s[2:3]
	s_andn2_b64 s[16:17], s[16:17], exec
.LBB0_13:
	s_or_b64 exec, exec, s[18:19]
	v_ashrrev_i32_e32 v1, 31, v0
	s_and_saveexec_b64 s[2:3], s[16:17]
	s_cbranch_execz .LBB0_15
; %bb.14:
	v_ashrrev_i32_e32 v10, 31, v3
	v_mul_lo_u32 v11, s15, v3
	v_mul_lo_u32 v12, s14, v10
	v_mad_u64_u32 v[8:9], s[16:17], s14, v3, 0
	v_add3_u32 v9, v9, v12, v11
	v_lshl_add_u64 v[8:9], v[8:9], 3, s[8:9]
	v_mul_lo_u32 v12, s23, v3
	v_mul_lo_u32 v13, s22, v10
	v_mad_u64_u32 v[10:11], s[16:17], s22, v3, 0
	global_load_dwordx2 v[8:9], v[8:9], off
	v_add3_u32 v11, v11, v13, v12
	v_lshl_add_u64 v[10:11], v[10:11], 3, s[10:11]
	global_load_dwordx2 v[12:13], v[10:11], off
	global_load_dwordx2 v[14:15], v[4:5], off
	;; [unrolled: 1-line block ×3, first 2 shown]
	v_lshl_add_u64 v[10:11], v[0:1], 3, s[4:5]
	global_load_dwordx2 v[18:19], v[10:11], off
	s_waitcnt vmcnt(4)
	v_pk_mul_f32 v[20:21], s[6:7], v[8:9]
	s_waitcnt vmcnt(3)
	v_pk_mul_f32 v[22:23], s[6:7], v[12:13]
	v_pk_mul_f32 v[8:9], s[12:13], v[8:9]
	v_pk_mul_f32 v[12:13], s[6:7], v[12:13] op_sel:[0,1] op_sel_hi:[1,0]
	v_pk_add_f32 v[20:21], v[20:21], v[20:21] op_sel:[0,1] op_sel_hi:[0,1] neg_lo:[0,1] neg_hi:[0,1]
	v_pk_add_f32 v[22:23], v[22:23], v[22:23] op_sel:[0,1] op_sel_hi:[0,1]
	v_pk_add_f32 v[8:9], v[8:9], v[8:9] op_sel:[0,1] op_sel_hi:[0,1]
	v_pk_add_f32 v[12:13], v[12:13], v[12:13] op_sel:[0,1] op_sel_hi:[0,1] neg_lo:[0,1] neg_hi:[0,1]
	s_waitcnt vmcnt(2)
	v_pk_mul_f32 v[20:21], v[14:15], v[20:21]
	s_waitcnt vmcnt(1)
	v_pk_mul_f32 v[22:23], v[16:17], v[22:23]
	v_pk_fma_f32 v[24:25], v[14:15], v[8:9], v[20:21] op_sel:[1,0,0] op_sel_hi:[0,1,1]
	v_pk_fma_f32 v[8:9], v[14:15], v[8:9], v[20:21] op_sel:[1,0,0] op_sel_hi:[0,1,1] neg_lo:[0,0,1] neg_hi:[0,0,1]
	v_pk_fma_f32 v[14:15], v[16:17], v[12:13], v[22:23] op_sel:[1,0,0] op_sel_hi:[0,1,1]
	v_pk_fma_f32 v[12:13], v[16:17], v[12:13], v[22:23] op_sel:[1,0,0] op_sel_hi:[0,1,1] neg_lo:[0,0,1] neg_hi:[0,0,1]
	v_mov_b32_e32 v25, v9
	v_mov_b32_e32 v15, v13
	v_pk_add_f32 v[8:9], v[24:25], v[14:15]
	s_waitcnt vmcnt(0)
	v_pk_add_f32 v[8:9], v[18:19], v[8:9]
	global_store_dwordx2 v[10:11], v[8:9], off
.LBB0_15:
	s_or_b64 exec, exec, s[2:3]
	v_add_u32_e32 v3, 64, v3
	s_andn2_b64 vcc, exec, s[26:27]
	v_cmp_gt_i32_e64 s[2:3], s25, v3
	s_cbranch_vccnz .LBB0_17
; %bb.16:
	v_cmp_lt_i32_e32 vcc, v2, v3
	s_and_b64 s[2:3], s[2:3], vcc
	s_xor_b64 s[18:19], s[2:3], -1
	s_and_b64 s[2:3], s[2:3], exec
	s_and_b64 s[18:19], s[18:19], exec
	s_cbranch_execz .LBB0_18
	s_branch .LBB0_19
.LBB0_17:
	s_mov_b64 s[18:19], 0
	s_mov_b64 s[2:3], 0
.LBB0_18:
	v_cmp_ge_i32_e32 vcc, v3, v2
	s_xor_b64 s[0:1], s[0:1], -1
	s_or_b64 s[0:1], s[0:1], vcc
	s_andn2_b64 s[16:17], s[18:19], exec
	s_and_b64 s[0:1], s[0:1], exec
	s_or_b64 s[2:3], s[2:3], exec
	s_or_b64 s[18:19], s[16:17], s[0:1]
.LBB0_19:
	s_and_saveexec_b64 s[16:17], s[18:19]
	s_cbranch_execnz .LBB0_23
; %bb.20:
	s_or_b64 exec, exec, s[16:17]
	s_and_saveexec_b64 s[0:1], s[2:3]
	s_cbranch_execz .LBB0_22
.LBB0_21:
	v_ashrrev_i32_e32 v2, 31, v3
	v_mul_lo_u32 v10, s15, v3
	v_mul_lo_u32 v11, s14, v2
	v_mad_u64_u32 v[8:9], s[0:1], s14, v3, 0
	v_add3_u32 v9, v9, v11, v10
	v_lshl_add_u64 v[8:9], v[8:9], 3, s[8:9]
	v_mul_lo_u32 v10, s23, v3
	v_mul_lo_u32 v11, s22, v2
	v_mad_u64_u32 v[2:3], s[0:1], s22, v3, 0
	global_load_dwordx2 v[8:9], v[8:9], off
	v_add3_u32 v3, v3, v11, v10
	v_lshl_add_u64 v[2:3], v[2:3], 3, s[10:11]
	global_load_dwordx2 v[10:11], v[2:3], off
	global_load_dwordx2 v[12:13], v[4:5], off
	;; [unrolled: 1-line block ×3, first 2 shown]
	v_lshl_add_u64 v[0:1], v[0:1], 3, s[4:5]
	global_load_dwordx2 v[2:3], v[0:1], off offset:512
	s_waitcnt vmcnt(4)
	v_pk_mul_f32 v[4:5], s[6:7], v[8:9]
	v_pk_mul_f32 v[6:7], s[12:13], v[8:9]
	s_waitcnt vmcnt(3)
	v_pk_mul_f32 v[8:9], s[6:7], v[10:11]
	v_pk_mul_f32 v[10:11], s[6:7], v[10:11] op_sel:[0,1] op_sel_hi:[1,0]
	v_pk_add_f32 v[4:5], v[4:5], v[4:5] op_sel:[0,1] op_sel_hi:[0,1] neg_lo:[0,1] neg_hi:[0,1]
	v_pk_add_f32 v[8:9], v[8:9], v[8:9] op_sel:[0,1] op_sel_hi:[0,1]
	v_pk_add_f32 v[6:7], v[6:7], v[6:7] op_sel:[0,1] op_sel_hi:[0,1]
	v_pk_add_f32 v[10:11], v[10:11], v[10:11] op_sel:[0,1] op_sel_hi:[0,1] neg_lo:[0,1] neg_hi:[0,1]
	s_waitcnt vmcnt(2)
	v_pk_mul_f32 v[4:5], v[12:13], v[4:5]
	s_waitcnt vmcnt(1)
	v_pk_mul_f32 v[8:9], v[14:15], v[8:9]
	v_pk_fma_f32 v[16:17], v[12:13], v[6:7], v[4:5] op_sel:[1,0,0] op_sel_hi:[0,1,1]
	v_pk_fma_f32 v[4:5], v[12:13], v[6:7], v[4:5] op_sel:[1,0,0] op_sel_hi:[0,1,1] neg_lo:[0,0,1] neg_hi:[0,0,1]
	v_pk_fma_f32 v[6:7], v[14:15], v[10:11], v[8:9] op_sel:[1,0,0] op_sel_hi:[0,1,1]
	v_pk_fma_f32 v[8:9], v[14:15], v[10:11], v[8:9] op_sel:[1,0,0] op_sel_hi:[0,1,1] neg_lo:[0,0,1] neg_hi:[0,0,1]
	v_mov_b32_e32 v17, v5
	v_mov_b32_e32 v7, v9
	v_pk_add_f32 v[4:5], v[16:17], v[6:7]
	s_waitcnt vmcnt(0)
	v_pk_add_f32 v[2:3], v[2:3], v[4:5]
	global_store_dwordx2 v[0:1], v[2:3], off offset:512
.LBB0_22:
	s_endpgm
.LBB0_23:
	v_cmp_eq_u32_e32 vcc, v3, v2
	v_cmp_gt_i32_e64 s[0:1], s25, v3
	s_and_b64 s[18:19], vcc, s[0:1]
	s_and_saveexec_b64 s[0:1], s[18:19]
	s_cbranch_execz .LBB0_25
; %bb.24:
	global_load_dwordx2 v[8:9], v[4:5], off
	global_load_dwordx2 v[10:11], v[6:7], off
	v_lshl_add_u64 v[12:13], v[0:1], 3, s[4:5]
	global_load_dword v24, v[12:13], off offset:512
	s_waitcnt vmcnt(2)
	v_pk_mul_f32 v[14:15], s[6:7], v[8:9]
	s_waitcnt vmcnt(1)
	v_pk_mul_f32 v[18:19], s[6:7], v[10:11] op_sel:[0,1]
	v_pk_mul_f32 v[16:17], s[6:7], v[8:9] op_sel:[0,1] op_sel_hi:[1,0]
	v_pk_fma_f32 v[20:21], s[12:13], v[10:11], v[18:19] op_sel_hi:[1,0,1]
	v_pk_fma_f32 v[18:19], s[12:13], v[10:11], v[18:19] op_sel_hi:[1,0,1] neg_lo:[0,0,1] neg_hi:[0,0,1]
	v_pk_add_f32 v[14:15], v[14:15], v[14:15] op_sel:[0,1] op_sel_hi:[0,1]
	v_mov_b32_e32 v23, v19
	v_pk_mov_b32 v[18:19], v[18:19], v[20:21] op_sel:[1,0]
	v_pk_add_f32 v[16:17], v[16:17], v[16:17] op_sel:[0,1] op_sel_hi:[0,1] neg_lo:[0,1] neg_hi:[0,1]
	v_mov_b32_e32 v22, v20
	v_mul_f32_e32 v2, v8, v20
	v_pk_mul_f32 v[14:15], v[10:11], v[14:15]
	v_pk_mul_f32 v[18:19], v[8:9], v[18:19]
	v_pk_fma_f32 v[8:9], v[8:9], v[22:23], v[2:3] op_sel_hi:[1,1,0] neg_lo:[1,0,0] neg_hi:[1,0,0]
	v_pk_fma_f32 v[20:21], v[10:11], v[16:17], v[14:15] op_sel:[1,0,0] op_sel_hi:[0,1,1]
	v_pk_fma_f32 v[10:11], v[10:11], v[16:17], v[14:15] op_sel:[1,0,0] op_sel_hi:[0,1,1] neg_lo:[0,0,1] neg_hi:[0,0,1]
	v_add_f32_e32 v2, v18, v19
	s_waitcnt vmcnt(0)
	v_add_f32_e32 v8, v24, v2
	v_mov_b32_e32 v21, v11
	v_pk_add_f32 v[8:9], v[8:9], v[20:21]
	global_store_dwordx2 v[12:13], v[8:9], off offset:512
.LBB0_25:
	s_or_b64 exec, exec, s[0:1]
	s_andn2_b64 s[2:3], s[2:3], exec
	s_or_b64 exec, exec, s[16:17]
	s_and_saveexec_b64 s[0:1], s[2:3]
	s_cbranch_execnz .LBB0_21
	s_branch .LBB0_22
	.section	.rodata,"a",@progbits
	.p2align	6, 0x0
	.amdhsa_kernel _ZL19rocblas_hpr2_kernelILi64ELi16ELi2EPK19rocblas_complex_numIfES3_PS1_EvbiT2_T3_lllS6_lllT4_lli
		.amdhsa_group_segment_fixed_size 0
		.amdhsa_private_segment_fixed_size 0
		.amdhsa_kernarg_size 108
		.amdhsa_user_sgpr_count 2
		.amdhsa_user_sgpr_dispatch_ptr 0
		.amdhsa_user_sgpr_queue_ptr 0
		.amdhsa_user_sgpr_kernarg_segment_ptr 1
		.amdhsa_user_sgpr_dispatch_id 0
		.amdhsa_user_sgpr_kernarg_preload_length 0
		.amdhsa_user_sgpr_kernarg_preload_offset 0
		.amdhsa_user_sgpr_private_segment_size 0
		.amdhsa_uses_dynamic_stack 0
		.amdhsa_enable_private_segment 0
		.amdhsa_system_sgpr_workgroup_id_x 1
		.amdhsa_system_sgpr_workgroup_id_y 1
		.amdhsa_system_sgpr_workgroup_id_z 1
		.amdhsa_system_sgpr_workgroup_info 0
		.amdhsa_system_vgpr_workitem_id 1
		.amdhsa_next_free_vgpr 26
		.amdhsa_next_free_sgpr 44
		.amdhsa_accum_offset 28
		.amdhsa_reserve_vcc 1
		.amdhsa_float_round_mode_32 0
		.amdhsa_float_round_mode_16_64 0
		.amdhsa_float_denorm_mode_32 3
		.amdhsa_float_denorm_mode_16_64 3
		.amdhsa_dx10_clamp 1
		.amdhsa_ieee_mode 1
		.amdhsa_fp16_overflow 0
		.amdhsa_tg_split 0
		.amdhsa_exception_fp_ieee_invalid_op 0
		.amdhsa_exception_fp_denorm_src 0
		.amdhsa_exception_fp_ieee_div_zero 0
		.amdhsa_exception_fp_ieee_overflow 0
		.amdhsa_exception_fp_ieee_underflow 0
		.amdhsa_exception_fp_ieee_inexact 0
		.amdhsa_exception_int_div_zero 0
	.end_amdhsa_kernel
	.section	.text._ZL19rocblas_hpr2_kernelILi64ELi16ELi2EPK19rocblas_complex_numIfES3_PS1_EvbiT2_T3_lllS6_lllT4_lli,"axG",@progbits,_ZL19rocblas_hpr2_kernelILi64ELi16ELi2EPK19rocblas_complex_numIfES3_PS1_EvbiT2_T3_lllS6_lllT4_lli,comdat
.Lfunc_end0:
	.size	_ZL19rocblas_hpr2_kernelILi64ELi16ELi2EPK19rocblas_complex_numIfES3_PS1_EvbiT2_T3_lllS6_lllT4_lli, .Lfunc_end0-_ZL19rocblas_hpr2_kernelILi64ELi16ELi2EPK19rocblas_complex_numIfES3_PS1_EvbiT2_T3_lllS6_lllT4_lli
                                        ; -- End function
	.set _ZL19rocblas_hpr2_kernelILi64ELi16ELi2EPK19rocblas_complex_numIfES3_PS1_EvbiT2_T3_lllS6_lllT4_lli.num_vgpr, 26
	.set _ZL19rocblas_hpr2_kernelILi64ELi16ELi2EPK19rocblas_complex_numIfES3_PS1_EvbiT2_T3_lllS6_lllT4_lli.num_agpr, 0
	.set _ZL19rocblas_hpr2_kernelILi64ELi16ELi2EPK19rocblas_complex_numIfES3_PS1_EvbiT2_T3_lllS6_lllT4_lli.numbered_sgpr, 44
	.set _ZL19rocblas_hpr2_kernelILi64ELi16ELi2EPK19rocblas_complex_numIfES3_PS1_EvbiT2_T3_lllS6_lllT4_lli.num_named_barrier, 0
	.set _ZL19rocblas_hpr2_kernelILi64ELi16ELi2EPK19rocblas_complex_numIfES3_PS1_EvbiT2_T3_lllS6_lllT4_lli.private_seg_size, 0
	.set _ZL19rocblas_hpr2_kernelILi64ELi16ELi2EPK19rocblas_complex_numIfES3_PS1_EvbiT2_T3_lllS6_lllT4_lli.uses_vcc, 1
	.set _ZL19rocblas_hpr2_kernelILi64ELi16ELi2EPK19rocblas_complex_numIfES3_PS1_EvbiT2_T3_lllS6_lllT4_lli.uses_flat_scratch, 0
	.set _ZL19rocblas_hpr2_kernelILi64ELi16ELi2EPK19rocblas_complex_numIfES3_PS1_EvbiT2_T3_lllS6_lllT4_lli.has_dyn_sized_stack, 0
	.set _ZL19rocblas_hpr2_kernelILi64ELi16ELi2EPK19rocblas_complex_numIfES3_PS1_EvbiT2_T3_lllS6_lllT4_lli.has_recursion, 0
	.set _ZL19rocblas_hpr2_kernelILi64ELi16ELi2EPK19rocblas_complex_numIfES3_PS1_EvbiT2_T3_lllS6_lllT4_lli.has_indirect_call, 0
	.section	.AMDGPU.csdata,"",@progbits
; Kernel info:
; codeLenInByte = 1812
; TotalNumSgprs: 50
; NumVgprs: 26
; NumAgprs: 0
; TotalNumVgprs: 26
; ScratchSize: 0
; MemoryBound: 0
; FloatMode: 240
; IeeeMode: 1
; LDSByteSize: 0 bytes/workgroup (compile time only)
; SGPRBlocks: 6
; VGPRBlocks: 3
; NumSGPRsForWavesPerEU: 50
; NumVGPRsForWavesPerEU: 26
; AccumOffset: 28
; Occupancy: 8
; WaveLimiterHint : 0
; COMPUTE_PGM_RSRC2:SCRATCH_EN: 0
; COMPUTE_PGM_RSRC2:USER_SGPR: 2
; COMPUTE_PGM_RSRC2:TRAP_HANDLER: 0
; COMPUTE_PGM_RSRC2:TGID_X_EN: 1
; COMPUTE_PGM_RSRC2:TGID_Y_EN: 1
; COMPUTE_PGM_RSRC2:TGID_Z_EN: 1
; COMPUTE_PGM_RSRC2:TIDIG_COMP_CNT: 1
; COMPUTE_PGM_RSRC3_GFX90A:ACCUM_OFFSET: 6
; COMPUTE_PGM_RSRC3_GFX90A:TG_SPLIT: 0
	.section	.text._ZL19rocblas_hpr2_kernelILi64ELi16ELi2E19rocblas_complex_numIfEPKS1_PS1_EvbiT2_T3_lllS6_lllT4_lli,"axG",@progbits,_ZL19rocblas_hpr2_kernelILi64ELi16ELi2E19rocblas_complex_numIfEPKS1_PS1_EvbiT2_T3_lllS6_lllT4_lli,comdat
	.globl	_ZL19rocblas_hpr2_kernelILi64ELi16ELi2E19rocblas_complex_numIfEPKS1_PS1_EvbiT2_T3_lllS6_lllT4_lli ; -- Begin function _ZL19rocblas_hpr2_kernelILi64ELi16ELi2E19rocblas_complex_numIfEPKS1_PS1_EvbiT2_T3_lllS6_lllT4_lli
	.p2align	8
	.type	_ZL19rocblas_hpr2_kernelILi64ELi16ELi2E19rocblas_complex_numIfEPKS1_PS1_EvbiT2_T3_lllS6_lllT4_lli,@function
_ZL19rocblas_hpr2_kernelILi64ELi16ELi2E19rocblas_complex_numIfEPKS1_PS1_EvbiT2_T3_lllS6_lllT4_lli: ; @_ZL19rocblas_hpr2_kernelILi64ELi16ELi2E19rocblas_complex_numIfEPKS1_PS1_EvbiT2_T3_lllS6_lllT4_lli
; %bb.0:
	s_load_dwordx4 s[24:27], s[0:1], 0x0
	s_waitcnt lgkmcnt(0)
	v_cmp_neq_f32_e64 s[6:7], s26, 0
	v_cmp_neq_f32_e64 s[8:9], s27, 0
	s_or_b64 s[6:7], s[6:7], s[8:9]
	s_andn2_b64 vcc, exec, s[6:7]
	s_cbranch_vccnz .LBB1_22
; %bb.1:
	s_bitcmp1_b32 s24, 0
	s_cselect_b64 s[8:9], -1, 0
	s_xor_b64 s[28:29], s[8:9], -1
	v_and_b32_e32 v1, 0x3ff, v0
	v_bfe_u32 v0, v0, 10, 10
	s_mov_b64 s[6:7], -1
	v_lshl_add_u32 v3, s2, 7, v1
	v_lshl_add_u32 v2, s3, 4, v0
	s_and_b64 vcc, exec, s[28:29]
                                        ; implicit-def: $vgpr0
	s_cbranch_vccz .LBB1_3
; %bb.2:
	s_lshl_b32 s2, s25, 1
	v_sub_u32_e32 v0, s2, v2
	v_mad_u64_u32 v[0:1], s[2:3], v2, v0, v[2:3]
	v_lshrrev_b32_e32 v1, 31, v0
	v_add_u32_e32 v0, v0, v1
	v_ashrrev_i32_e32 v0, 1, v0
	v_sub_u32_e32 v1, v3, v2
	v_add_u32_e32 v0, v1, v0
	s_mov_b64 s[6:7], 0
.LBB1_3:
	s_andn2_b64 vcc, exec, s[6:7]
	s_cbranch_vccnz .LBB1_5
; %bb.4:
	v_mad_u64_u32 v[0:1], s[2:3], v2, v2, v[2:3]
	v_lshrrev_b32_e32 v1, 31, v0
	v_add_u32_e32 v0, v0, v1
	v_ashrrev_i32_e32 v0, 1, v0
	v_add_u32_e32 v0, v0, v3
.LBB1_5:
	s_load_dwordx16 s[8:23], s[0:1], 0x10
	s_load_dwordx2 s[2:3], s[0:1], 0x60
	s_load_dwordx4 s[36:39], s[0:1], 0x50
	v_ashrrev_i32_e32 v1, 31, v2
	s_waitcnt lgkmcnt(0)
	s_mul_i32 s1, s15, s4
	s_mul_hi_u32 s5, s14, s4
	s_mul_i32 s0, s14, s4
	s_add_i32 s1, s5, s1
	s_lshl_b64 s[0:1], s[0:1], 3
	s_add_u32 s5, s8, s0
	s_addc_u32 s7, s9, s1
	s_lshl_b64 s[0:1], s[10:11], 3
	s_add_u32 s6, s5, s0
	s_addc_u32 s7, s7, s1
	s_mul_i32 s0, s23, s4
	s_mul_hi_u32 s1, s22, s4
	s_add_i32 s1, s1, s0
	s_mul_i32 s0, s22, s4
	s_lshl_b64 s[0:1], s[0:1], 3
	s_add_u32 s5, s16, s0
	s_addc_u32 s9, s17, s1
	s_lshl_b64 s[0:1], s[18:19], 3
	s_add_u32 s8, s5, s0
	s_addc_u32 s9, s9, s1
	s_mul_i32 s0, s3, s4
	s_mul_hi_u32 s1, s2, s4
	s_add_i32 s1, s1, s0
	s_mul_i32 s0, s2, s4
	s_lshl_b64 s[0:1], s[0:1], 3
	s_add_u32 s2, s36, s0
	s_addc_u32 s3, s37, s1
	s_lshl_b64 s[0:1], s[38:39], 3
	s_add_u32 s4, s2, s0
	s_addc_u32 s5, s3, s1
	v_mul_lo_u32 v6, s21, v2
	v_mul_lo_u32 v7, s20, v1
	v_mad_u64_u32 v[4:5], s[2:3], s20, v2, 0
	v_add3_u32 v5, v5, v7, v6
	v_mul_lo_u32 v6, s13, v2
	v_mul_lo_u32 v1, s12, v1
	v_mad_u64_u32 v[8:9], s[2:3], s12, v2, 0
	v_cmp_gt_i32_e64 s[0:1], s25, v2
	v_add3_u32 v9, v9, v1, v6
	s_and_b64 vcc, exec, s[28:29]
	s_cbranch_vccz .LBB1_7
; %bb.6:
	v_cmp_le_i32_e32 vcc, s25, v3
	v_cmp_le_i32_e64 s[2:3], v3, v2
	s_or_b64 s[2:3], s[2:3], vcc
	s_mov_b64 s[14:15], -1
	s_and_b64 s[2:3], s[2:3], exec
	s_cbranch_execz .LBB1_8
	s_branch .LBB1_9
.LBB1_7:
	s_mov_b64 s[2:3], 0
	s_mov_b64 s[14:15], 0
.LBB1_8:
	v_cmp_lt_i32_e32 vcc, v3, v2
	s_and_b64 s[10:11], vcc, s[0:1]
	s_xor_b64 s[16:17], s[10:11], -1
	s_andn2_b64 s[14:15], s[14:15], exec
	s_and_b64 s[10:11], s[10:11], exec
	s_or_b64 s[14:15], s[14:15], s[10:11]
	s_andn2_b64 s[2:3], s[2:3], exec
	s_and_b64 s[10:11], s[16:17], exec
	s_or_b64 s[2:3], s[2:3], s[10:11]
.LBB1_9:
	s_mov_b32 s10, s27
	s_mov_b32 s11, s26
	v_lshl_add_u64 v[6:7], v[4:5], 3, s[8:9]
	v_lshl_add_u64 v[4:5], v[8:9], 3, s[6:7]
	s_and_saveexec_b64 s[16:17], s[2:3]
	s_xor_b64 s[16:17], exec, s[16:17]
	s_cbranch_execz .LBB1_13
; %bb.10:
	v_cmp_eq_u32_e32 vcc, v3, v2
	v_cmp_gt_i32_e64 s[2:3], s25, v3
	s_and_b64 s[18:19], vcc, s[2:3]
	s_and_saveexec_b64 s[2:3], s[18:19]
	s_cbranch_execz .LBB1_12
; %bb.11:
	v_ashrrev_i32_e32 v1, 31, v3
	v_mul_lo_u32 v10, s13, v3
	v_mul_lo_u32 v11, s12, v1
	v_mad_u64_u32 v[8:9], s[18:19], s12, v3, 0
	v_add3_u32 v9, v9, v11, v10
	v_lshl_add_u64 v[8:9], v[8:9], 3, s[6:7]
	global_load_dwordx2 v[8:9], v[8:9], off
	v_mul_lo_u32 v12, s21, v3
	v_mul_lo_u32 v1, s20, v1
	v_mad_u64_u32 v[10:11], s[18:19], s20, v3, 0
	v_add3_u32 v11, v11, v1, v12
	v_lshl_add_u64 v[10:11], v[10:11], 3, s[8:9]
	global_load_dwordx2 v[12:13], v[10:11], off
	global_load_dwordx2 v[14:15], v[6:7], off
	;; [unrolled: 1-line block ×3, first 2 shown]
	v_ashrrev_i32_e32 v1, 31, v0
	v_lshl_add_u64 v[10:11], v[0:1], 3, s[4:5]
	global_load_dword v1, v[10:11], off
	s_waitcnt vmcnt(4)
	v_pk_mul_f32 v[18:19], s[26:27], v[8:9] op_sel:[0,1]
	s_nop 0
	v_pk_fma_f32 v[22:23], s[10:11], v[8:9], v[18:19] op_sel_hi:[1,0,1]
	v_pk_fma_f32 v[8:9], s[10:11], v[8:9], v[18:19] op_sel_hi:[1,0,1] neg_lo:[0,0,1] neg_hi:[0,0,1]
	s_waitcnt vmcnt(3)
	v_pk_mul_f32 v[20:21], s[26:27], v[12:13]
	v_pk_mul_f32 v[12:13], s[26:27], v[12:13] op_sel:[0,1] op_sel_hi:[1,0]
	v_pk_add_f32 v[18:19], v[20:21], v[20:21] op_sel:[0,1] op_sel_hi:[0,1]
	v_mov_b32_e32 v21, v9
	v_pk_mov_b32 v[8:9], v[8:9], v[22:23] op_sel:[1,0]
	v_pk_add_f32 v[12:13], v[12:13], v[12:13] op_sel:[0,1] op_sel_hi:[0,1] neg_lo:[0,1] neg_hi:[0,1]
	v_mov_b32_e32 v20, v22
	s_waitcnt vmcnt(2)
	v_mul_f32_e32 v22, v14, v22
	s_waitcnt vmcnt(1)
	v_pk_mul_f32 v[18:19], v[16:17], v[18:19]
	v_pk_mul_f32 v[8:9], v[14:15], v[8:9]
	v_pk_fma_f32 v[14:15], v[14:15], v[20:21], v[22:23] op_sel_hi:[1,1,0] neg_lo:[1,0,0] neg_hi:[1,0,0]
	v_pk_fma_f32 v[20:21], v[16:17], v[12:13], v[18:19] op_sel:[1,0,0] op_sel_hi:[0,1,1]
	v_pk_fma_f32 v[12:13], v[16:17], v[12:13], v[18:19] op_sel:[1,0,0] op_sel_hi:[0,1,1] neg_lo:[0,0,1] neg_hi:[0,0,1]
	v_add_f32_e32 v8, v8, v9
	s_waitcnt vmcnt(0)
	v_add_f32_e32 v14, v1, v8
	v_mov_b32_e32 v21, v13
	v_pk_add_f32 v[8:9], v[14:15], v[20:21]
	global_store_dwordx2 v[10:11], v[8:9], off
.LBB1_12:
	s_or_b64 exec, exec, s[2:3]
	s_andn2_b64 s[14:15], s[14:15], exec
.LBB1_13:
	s_or_b64 exec, exec, s[16:17]
	v_ashrrev_i32_e32 v1, 31, v0
	s_and_saveexec_b64 s[2:3], s[14:15]
	s_cbranch_execz .LBB1_15
; %bb.14:
	v_ashrrev_i32_e32 v10, 31, v3
	v_mul_lo_u32 v11, s13, v3
	v_mul_lo_u32 v12, s12, v10
	v_mad_u64_u32 v[8:9], s[14:15], s12, v3, 0
	v_add3_u32 v9, v9, v12, v11
	v_lshl_add_u64 v[8:9], v[8:9], 3, s[6:7]
	v_mul_lo_u32 v12, s21, v3
	v_mul_lo_u32 v13, s20, v10
	v_mad_u64_u32 v[10:11], s[14:15], s20, v3, 0
	global_load_dwordx2 v[8:9], v[8:9], off
	v_add3_u32 v11, v11, v13, v12
	v_lshl_add_u64 v[10:11], v[10:11], 3, s[8:9]
	global_load_dwordx2 v[12:13], v[10:11], off
	global_load_dwordx2 v[14:15], v[6:7], off
	;; [unrolled: 1-line block ×3, first 2 shown]
	v_lshl_add_u64 v[10:11], v[0:1], 3, s[4:5]
	global_load_dwordx2 v[18:19], v[10:11], off
	s_waitcnt vmcnt(4)
	v_pk_mul_f32 v[20:21], s[26:27], v[8:9]
	s_waitcnt vmcnt(3)
	v_pk_mul_f32 v[22:23], s[26:27], v[12:13]
	v_pk_mul_f32 v[8:9], s[10:11], v[8:9]
	v_pk_mul_f32 v[12:13], s[26:27], v[12:13] op_sel:[0,1] op_sel_hi:[1,0]
	v_pk_add_f32 v[20:21], v[20:21], v[20:21] op_sel:[0,1] op_sel_hi:[0,1] neg_lo:[0,1] neg_hi:[0,1]
	v_pk_add_f32 v[22:23], v[22:23], v[22:23] op_sel:[0,1] op_sel_hi:[0,1]
	v_pk_add_f32 v[8:9], v[8:9], v[8:9] op_sel:[0,1] op_sel_hi:[0,1]
	v_pk_add_f32 v[12:13], v[12:13], v[12:13] op_sel:[0,1] op_sel_hi:[0,1] neg_lo:[0,1] neg_hi:[0,1]
	s_waitcnt vmcnt(2)
	v_pk_mul_f32 v[20:21], v[14:15], v[20:21]
	s_waitcnt vmcnt(1)
	v_pk_mul_f32 v[22:23], v[16:17], v[22:23]
	v_pk_fma_f32 v[24:25], v[14:15], v[8:9], v[20:21] op_sel:[1,0,0] op_sel_hi:[0,1,1]
	v_pk_fma_f32 v[8:9], v[14:15], v[8:9], v[20:21] op_sel:[1,0,0] op_sel_hi:[0,1,1] neg_lo:[0,0,1] neg_hi:[0,0,1]
	v_pk_fma_f32 v[14:15], v[16:17], v[12:13], v[22:23] op_sel:[1,0,0] op_sel_hi:[0,1,1]
	v_pk_fma_f32 v[12:13], v[16:17], v[12:13], v[22:23] op_sel:[1,0,0] op_sel_hi:[0,1,1] neg_lo:[0,0,1] neg_hi:[0,0,1]
	v_mov_b32_e32 v25, v9
	v_mov_b32_e32 v15, v13
	v_pk_add_f32 v[8:9], v[24:25], v[14:15]
	s_waitcnt vmcnt(0)
	v_pk_add_f32 v[8:9], v[18:19], v[8:9]
	global_store_dwordx2 v[10:11], v[8:9], off
.LBB1_15:
	s_or_b64 exec, exec, s[2:3]
	v_add_u32_e32 v3, 64, v3
	s_andn2_b64 vcc, exec, s[28:29]
	v_cmp_gt_i32_e64 s[2:3], s25, v3
	s_cbranch_vccnz .LBB1_17
; %bb.16:
	v_cmp_lt_i32_e32 vcc, v2, v3
	s_and_b64 s[2:3], s[2:3], vcc
	s_xor_b64 s[16:17], s[2:3], -1
	s_and_b64 s[2:3], s[2:3], exec
	s_and_b64 s[16:17], s[16:17], exec
	s_cbranch_execz .LBB1_18
	s_branch .LBB1_19
.LBB1_17:
	s_mov_b64 s[16:17], 0
	s_mov_b64 s[2:3], 0
.LBB1_18:
	v_cmp_ge_i32_e32 vcc, v3, v2
	s_xor_b64 s[0:1], s[0:1], -1
	s_or_b64 s[0:1], s[0:1], vcc
	s_andn2_b64 s[14:15], s[16:17], exec
	s_and_b64 s[0:1], s[0:1], exec
	s_or_b64 s[2:3], s[2:3], exec
	s_or_b64 s[16:17], s[14:15], s[0:1]
.LBB1_19:
	s_and_saveexec_b64 s[14:15], s[16:17]
	s_cbranch_execnz .LBB1_23
; %bb.20:
	s_or_b64 exec, exec, s[14:15]
	s_and_saveexec_b64 s[0:1], s[2:3]
	s_cbranch_execz .LBB1_22
.LBB1_21:
	v_ashrrev_i32_e32 v2, 31, v3
	v_mul_lo_u32 v10, s13, v3
	v_mul_lo_u32 v11, s12, v2
	v_mad_u64_u32 v[8:9], s[0:1], s12, v3, 0
	v_add3_u32 v9, v9, v11, v10
	v_lshl_add_u64 v[8:9], v[8:9], 3, s[6:7]
	v_mul_lo_u32 v10, s21, v3
	v_mul_lo_u32 v11, s20, v2
	v_mad_u64_u32 v[2:3], s[0:1], s20, v3, 0
	global_load_dwordx2 v[8:9], v[8:9], off
	v_add3_u32 v3, v3, v11, v10
	v_lshl_add_u64 v[2:3], v[2:3], 3, s[8:9]
	global_load_dwordx2 v[10:11], v[2:3], off
	global_load_dwordx2 v[12:13], v[6:7], off
	;; [unrolled: 1-line block ×3, first 2 shown]
	v_lshl_add_u64 v[0:1], v[0:1], 3, s[4:5]
	global_load_dwordx2 v[2:3], v[0:1], off offset:512
	s_waitcnt vmcnt(4)
	v_pk_mul_f32 v[4:5], s[26:27], v[8:9]
	v_pk_mul_f32 v[6:7], s[10:11], v[8:9]
	s_waitcnt vmcnt(3)
	v_pk_mul_f32 v[8:9], s[26:27], v[10:11]
	v_pk_mul_f32 v[10:11], s[26:27], v[10:11] op_sel:[0,1] op_sel_hi:[1,0]
	v_pk_add_f32 v[4:5], v[4:5], v[4:5] op_sel:[0,1] op_sel_hi:[0,1] neg_lo:[0,1] neg_hi:[0,1]
	v_pk_add_f32 v[8:9], v[8:9], v[8:9] op_sel:[0,1] op_sel_hi:[0,1]
	v_pk_add_f32 v[6:7], v[6:7], v[6:7] op_sel:[0,1] op_sel_hi:[0,1]
	v_pk_add_f32 v[10:11], v[10:11], v[10:11] op_sel:[0,1] op_sel_hi:[0,1] neg_lo:[0,1] neg_hi:[0,1]
	s_waitcnt vmcnt(2)
	v_pk_mul_f32 v[4:5], v[12:13], v[4:5]
	s_waitcnt vmcnt(1)
	v_pk_mul_f32 v[8:9], v[14:15], v[8:9]
	v_pk_fma_f32 v[16:17], v[12:13], v[6:7], v[4:5] op_sel:[1,0,0] op_sel_hi:[0,1,1]
	v_pk_fma_f32 v[4:5], v[12:13], v[6:7], v[4:5] op_sel:[1,0,0] op_sel_hi:[0,1,1] neg_lo:[0,0,1] neg_hi:[0,0,1]
	v_pk_fma_f32 v[6:7], v[14:15], v[10:11], v[8:9] op_sel:[1,0,0] op_sel_hi:[0,1,1]
	v_pk_fma_f32 v[8:9], v[14:15], v[10:11], v[8:9] op_sel:[1,0,0] op_sel_hi:[0,1,1] neg_lo:[0,0,1] neg_hi:[0,0,1]
	v_mov_b32_e32 v17, v5
	v_mov_b32_e32 v7, v9
	v_pk_add_f32 v[4:5], v[16:17], v[6:7]
	s_waitcnt vmcnt(0)
	v_pk_add_f32 v[2:3], v[2:3], v[4:5]
	global_store_dwordx2 v[0:1], v[2:3], off offset:512
.LBB1_22:
	s_endpgm
.LBB1_23:
	v_cmp_eq_u32_e32 vcc, v3, v2
	v_cmp_gt_i32_e64 s[0:1], s25, v3
	s_and_b64 s[16:17], vcc, s[0:1]
	s_and_saveexec_b64 s[0:1], s[16:17]
	s_cbranch_execz .LBB1_25
; %bb.24:
	global_load_dwordx2 v[8:9], v[6:7], off
	global_load_dwordx2 v[10:11], v[4:5], off
	v_lshl_add_u64 v[12:13], v[0:1], 3, s[4:5]
	global_load_dword v24, v[12:13], off offset:512
	s_waitcnt vmcnt(2)
	v_pk_mul_f32 v[14:15], s[26:27], v[8:9]
	s_waitcnt vmcnt(1)
	v_pk_mul_f32 v[18:19], s[26:27], v[10:11] op_sel:[0,1]
	v_pk_mul_f32 v[16:17], s[26:27], v[8:9] op_sel:[0,1] op_sel_hi:[1,0]
	v_pk_fma_f32 v[20:21], s[10:11], v[10:11], v[18:19] op_sel_hi:[1,0,1]
	v_pk_fma_f32 v[18:19], s[10:11], v[10:11], v[18:19] op_sel_hi:[1,0,1] neg_lo:[0,0,1] neg_hi:[0,0,1]
	v_pk_add_f32 v[14:15], v[14:15], v[14:15] op_sel:[0,1] op_sel_hi:[0,1]
	v_mov_b32_e32 v23, v19
	v_pk_mov_b32 v[18:19], v[18:19], v[20:21] op_sel:[1,0]
	v_pk_add_f32 v[16:17], v[16:17], v[16:17] op_sel:[0,1] op_sel_hi:[0,1] neg_lo:[0,1] neg_hi:[0,1]
	v_mov_b32_e32 v22, v20
	v_mul_f32_e32 v2, v8, v20
	v_pk_mul_f32 v[14:15], v[10:11], v[14:15]
	v_pk_mul_f32 v[18:19], v[8:9], v[18:19]
	v_pk_fma_f32 v[8:9], v[8:9], v[22:23], v[2:3] op_sel_hi:[1,1,0] neg_lo:[1,0,0] neg_hi:[1,0,0]
	v_pk_fma_f32 v[20:21], v[10:11], v[16:17], v[14:15] op_sel:[1,0,0] op_sel_hi:[0,1,1]
	v_pk_fma_f32 v[10:11], v[10:11], v[16:17], v[14:15] op_sel:[1,0,0] op_sel_hi:[0,1,1] neg_lo:[0,0,1] neg_hi:[0,0,1]
	v_add_f32_e32 v2, v18, v19
	s_waitcnt vmcnt(0)
	v_add_f32_e32 v8, v24, v2
	v_mov_b32_e32 v21, v11
	v_pk_add_f32 v[8:9], v[8:9], v[20:21]
	global_store_dwordx2 v[12:13], v[8:9], off offset:512
.LBB1_25:
	s_or_b64 exec, exec, s[0:1]
	s_andn2_b64 s[2:3], s[2:3], exec
	s_or_b64 exec, exec, s[14:15]
	s_and_saveexec_b64 s[0:1], s[2:3]
	s_cbranch_execnz .LBB1_21
	s_branch .LBB1_22
	.section	.rodata,"a",@progbits
	.p2align	6, 0x0
	.amdhsa_kernel _ZL19rocblas_hpr2_kernelILi64ELi16ELi2E19rocblas_complex_numIfEPKS1_PS1_EvbiT2_T3_lllS6_lllT4_lli
		.amdhsa_group_segment_fixed_size 0
		.amdhsa_private_segment_fixed_size 0
		.amdhsa_kernarg_size 108
		.amdhsa_user_sgpr_count 2
		.amdhsa_user_sgpr_dispatch_ptr 0
		.amdhsa_user_sgpr_queue_ptr 0
		.amdhsa_user_sgpr_kernarg_segment_ptr 1
		.amdhsa_user_sgpr_dispatch_id 0
		.amdhsa_user_sgpr_kernarg_preload_length 0
		.amdhsa_user_sgpr_kernarg_preload_offset 0
		.amdhsa_user_sgpr_private_segment_size 0
		.amdhsa_uses_dynamic_stack 0
		.amdhsa_enable_private_segment 0
		.amdhsa_system_sgpr_workgroup_id_x 1
		.amdhsa_system_sgpr_workgroup_id_y 1
		.amdhsa_system_sgpr_workgroup_id_z 1
		.amdhsa_system_sgpr_workgroup_info 0
		.amdhsa_system_vgpr_workitem_id 1
		.amdhsa_next_free_vgpr 26
		.amdhsa_next_free_sgpr 40
		.amdhsa_accum_offset 28
		.amdhsa_reserve_vcc 1
		.amdhsa_float_round_mode_32 0
		.amdhsa_float_round_mode_16_64 0
		.amdhsa_float_denorm_mode_32 3
		.amdhsa_float_denorm_mode_16_64 3
		.amdhsa_dx10_clamp 1
		.amdhsa_ieee_mode 1
		.amdhsa_fp16_overflow 0
		.amdhsa_tg_split 0
		.amdhsa_exception_fp_ieee_invalid_op 0
		.amdhsa_exception_fp_denorm_src 0
		.amdhsa_exception_fp_ieee_div_zero 0
		.amdhsa_exception_fp_ieee_overflow 0
		.amdhsa_exception_fp_ieee_underflow 0
		.amdhsa_exception_fp_ieee_inexact 0
		.amdhsa_exception_int_div_zero 0
	.end_amdhsa_kernel
	.section	.text._ZL19rocblas_hpr2_kernelILi64ELi16ELi2E19rocblas_complex_numIfEPKS1_PS1_EvbiT2_T3_lllS6_lllT4_lli,"axG",@progbits,_ZL19rocblas_hpr2_kernelILi64ELi16ELi2E19rocblas_complex_numIfEPKS1_PS1_EvbiT2_T3_lllS6_lllT4_lli,comdat
.Lfunc_end1:
	.size	_ZL19rocblas_hpr2_kernelILi64ELi16ELi2E19rocblas_complex_numIfEPKS1_PS1_EvbiT2_T3_lllS6_lllT4_lli, .Lfunc_end1-_ZL19rocblas_hpr2_kernelILi64ELi16ELi2E19rocblas_complex_numIfEPKS1_PS1_EvbiT2_T3_lllS6_lllT4_lli
                                        ; -- End function
	.set _ZL19rocblas_hpr2_kernelILi64ELi16ELi2E19rocblas_complex_numIfEPKS1_PS1_EvbiT2_T3_lllS6_lllT4_lli.num_vgpr, 26
	.set _ZL19rocblas_hpr2_kernelILi64ELi16ELi2E19rocblas_complex_numIfEPKS1_PS1_EvbiT2_T3_lllS6_lllT4_lli.num_agpr, 0
	.set _ZL19rocblas_hpr2_kernelILi64ELi16ELi2E19rocblas_complex_numIfEPKS1_PS1_EvbiT2_T3_lllS6_lllT4_lli.numbered_sgpr, 40
	.set _ZL19rocblas_hpr2_kernelILi64ELi16ELi2E19rocblas_complex_numIfEPKS1_PS1_EvbiT2_T3_lllS6_lllT4_lli.num_named_barrier, 0
	.set _ZL19rocblas_hpr2_kernelILi64ELi16ELi2E19rocblas_complex_numIfEPKS1_PS1_EvbiT2_T3_lllS6_lllT4_lli.private_seg_size, 0
	.set _ZL19rocblas_hpr2_kernelILi64ELi16ELi2E19rocblas_complex_numIfEPKS1_PS1_EvbiT2_T3_lllS6_lllT4_lli.uses_vcc, 1
	.set _ZL19rocblas_hpr2_kernelILi64ELi16ELi2E19rocblas_complex_numIfEPKS1_PS1_EvbiT2_T3_lllS6_lllT4_lli.uses_flat_scratch, 0
	.set _ZL19rocblas_hpr2_kernelILi64ELi16ELi2E19rocblas_complex_numIfEPKS1_PS1_EvbiT2_T3_lllS6_lllT4_lli.has_dyn_sized_stack, 0
	.set _ZL19rocblas_hpr2_kernelILi64ELi16ELi2E19rocblas_complex_numIfEPKS1_PS1_EvbiT2_T3_lllS6_lllT4_lli.has_recursion, 0
	.set _ZL19rocblas_hpr2_kernelILi64ELi16ELi2E19rocblas_complex_numIfEPKS1_PS1_EvbiT2_T3_lllS6_lllT4_lli.has_indirect_call, 0
	.section	.AMDGPU.csdata,"",@progbits
; Kernel info:
; codeLenInByte = 1804
; TotalNumSgprs: 46
; NumVgprs: 26
; NumAgprs: 0
; TotalNumVgprs: 26
; ScratchSize: 0
; MemoryBound: 0
; FloatMode: 240
; IeeeMode: 1
; LDSByteSize: 0 bytes/workgroup (compile time only)
; SGPRBlocks: 5
; VGPRBlocks: 3
; NumSGPRsForWavesPerEU: 46
; NumVGPRsForWavesPerEU: 26
; AccumOffset: 28
; Occupancy: 8
; WaveLimiterHint : 0
; COMPUTE_PGM_RSRC2:SCRATCH_EN: 0
; COMPUTE_PGM_RSRC2:USER_SGPR: 2
; COMPUTE_PGM_RSRC2:TRAP_HANDLER: 0
; COMPUTE_PGM_RSRC2:TGID_X_EN: 1
; COMPUTE_PGM_RSRC2:TGID_Y_EN: 1
; COMPUTE_PGM_RSRC2:TGID_Z_EN: 1
; COMPUTE_PGM_RSRC2:TIDIG_COMP_CNT: 1
; COMPUTE_PGM_RSRC3_GFX90A:ACCUM_OFFSET: 6
; COMPUTE_PGM_RSRC3_GFX90A:TG_SPLIT: 0
	.section	.text._ZL19rocblas_hpr2_kernelILi64ELi16ELi2EPK19rocblas_complex_numIdES3_PS1_EvbiT2_T3_lllS6_lllT4_lli,"axG",@progbits,_ZL19rocblas_hpr2_kernelILi64ELi16ELi2EPK19rocblas_complex_numIdES3_PS1_EvbiT2_T3_lllS6_lllT4_lli,comdat
	.globl	_ZL19rocblas_hpr2_kernelILi64ELi16ELi2EPK19rocblas_complex_numIdES3_PS1_EvbiT2_T3_lllS6_lllT4_lli ; -- Begin function _ZL19rocblas_hpr2_kernelILi64ELi16ELi2EPK19rocblas_complex_numIdES3_PS1_EvbiT2_T3_lllS6_lllT4_lli
	.p2align	8
	.type	_ZL19rocblas_hpr2_kernelILi64ELi16ELi2EPK19rocblas_complex_numIdES3_PS1_EvbiT2_T3_lllS6_lllT4_lli,@function
_ZL19rocblas_hpr2_kernelILi64ELi16ELi2EPK19rocblas_complex_numIdES3_PS1_EvbiT2_T3_lllS6_lllT4_lli: ; @_ZL19rocblas_hpr2_kernelILi64ELi16ELi2EPK19rocblas_complex_numIdES3_PS1_EvbiT2_T3_lllS6_lllT4_lli
; %bb.0:
	s_load_dwordx16 s[8:23], s[0:1], 0x8
	s_waitcnt lgkmcnt(0)
	s_load_dwordx4 s[24:27], s[8:9], 0x0
	s_waitcnt lgkmcnt(0)
	v_cmp_neq_f64_e64 s[6:7], s[24:25], 0
	v_cmp_neq_f64_e64 s[8:9], s[26:27], 0
	s_or_b64 s[6:7], s[6:7], s[8:9]
	s_andn2_b64 vcc, exec, s[6:7]
	s_cbranch_vccnz .LBB2_22
; %bb.1:
	s_load_dwordx2 s[28:29], s[0:1], 0x0
	v_and_b32_e32 v1, 0x3ff, v0
	v_bfe_u32 v0, v0, 10, 10
	s_mov_b64 s[6:7], -1
	v_lshl_add_u32 v3, s2, 7, v1
	s_waitcnt lgkmcnt(0)
	s_bitcmp1_b32 s28, 0
	s_cselect_b64 s[8:9], -1, 0
	s_xor_b64 s[30:31], s[8:9], -1
	v_lshl_add_u32 v2, s3, 4, v0
	s_and_b64 vcc, exec, s[30:31]
                                        ; implicit-def: $vgpr0
	s_cbranch_vccz .LBB2_3
; %bb.2:
	s_lshl_b32 s2, s29, 1
	v_sub_u32_e32 v0, s2, v2
	v_mad_u64_u32 v[0:1], s[2:3], v2, v0, v[2:3]
	v_lshrrev_b32_e32 v1, 31, v0
	v_add_u32_e32 v0, v0, v1
	v_ashrrev_i32_e32 v0, 1, v0
	v_sub_u32_e32 v1, v3, v2
	v_add_u32_e32 v0, v1, v0
	s_mov_b64 s[6:7], 0
.LBB2_3:
	s_andn2_b64 vcc, exec, s[6:7]
	s_cbranch_vccnz .LBB2_5
; %bb.4:
	v_mad_u64_u32 v[0:1], s[2:3], v2, v2, v[2:3]
	v_lshrrev_b32_e32 v1, 31, v0
	v_add_u32_e32 v0, v0, v1
	v_ashrrev_i32_e32 v0, 1, v0
	v_add_u32_e32 v0, v0, v3
.LBB2_5:
	s_load_dwordx8 s[36:43], s[0:1], 0x48
	s_mul_i32 s0, s17, s4
	s_mul_hi_u32 s1, s16, s4
	s_add_i32 s1, s1, s0
	s_mul_i32 s0, s16, s4
	s_lshl_b64 s[0:1], s[0:1], 4
	s_add_u32 s2, s10, s0
	s_addc_u32 s3, s11, s1
	s_lshl_b64 s[0:1], s[12:13], 4
	s_add_u32 s8, s2, s0
	s_addc_u32 s9, s3, s1
	s_waitcnt lgkmcnt(0)
	s_mul_i32 s0, s37, s4
	s_mul_hi_u32 s1, s36, s4
	s_add_i32 s1, s1, s0
	s_mul_i32 s0, s36, s4
	s_lshl_b64 s[0:1], s[0:1], 4
	s_add_u32 s2, s18, s0
	s_addc_u32 s3, s19, s1
	s_lshl_b64 s[0:1], s[20:21], 4
	s_add_u32 s6, s2, s0
	s_addc_u32 s7, s3, s1
	s_mul_i32 s0, s43, s4
	s_mul_hi_u32 s1, s42, s4
	s_add_i32 s1, s1, s0
	s_mul_i32 s0, s42, s4
	s_lshl_b64 s[0:1], s[0:1], 4
	s_add_u32 s2, s38, s0
	s_addc_u32 s3, s39, s1
	s_lshl_b64 s[0:1], s[40:41], 4
	s_add_u32 s4, s2, s0
	v_ashrrev_i32_e32 v1, 31, v2
	s_addc_u32 s5, s3, s1
	v_mul_lo_u32 v6, s23, v2
	v_mul_lo_u32 v7, s22, v1
	v_mad_u64_u32 v[4:5], s[2:3], s22, v2, 0
	v_add3_u32 v5, v5, v7, v6
	v_mul_lo_u32 v6, s15, v2
	v_mul_lo_u32 v1, s14, v1
	v_mad_u64_u32 v[8:9], s[2:3], s14, v2, 0
	v_cmp_gt_i32_e64 s[0:1], s29, v2
	v_add3_u32 v9, v9, v1, v6
	s_and_b64 vcc, exec, s[30:31]
	s_cbranch_vccz .LBB2_7
; %bb.6:
	v_cmp_le_i32_e32 vcc, s29, v3
	v_cmp_le_i32_e64 s[2:3], v3, v2
	s_or_b64 s[2:3], s[2:3], vcc
	s_mov_b64 s[10:11], -1
	s_and_b64 s[2:3], s[2:3], exec
	s_cbranch_execz .LBB2_8
	s_branch .LBB2_9
.LBB2_7:
	s_mov_b64 s[2:3], 0
	s_mov_b64 s[10:11], 0
.LBB2_8:
	v_cmp_lt_i32_e32 vcc, v3, v2
	s_and_b64 s[12:13], vcc, s[0:1]
	s_xor_b64 s[16:17], s[12:13], -1
	s_andn2_b64 s[10:11], s[10:11], exec
	s_and_b64 s[12:13], s[12:13], exec
	s_or_b64 s[10:11], s[10:11], s[12:13]
	s_andn2_b64 s[2:3], s[2:3], exec
	s_and_b64 s[12:13], s[16:17], exec
	s_or_b64 s[2:3], s[2:3], s[12:13]
.LBB2_9:
	v_lshl_add_u64 v[6:7], v[4:5], 4, s[6:7]
	v_lshl_add_u64 v[4:5], v[8:9], 4, s[8:9]
	s_and_saveexec_b64 s[12:13], s[2:3]
	s_xor_b64 s[12:13], exec, s[12:13]
	s_cbranch_execz .LBB2_13
; %bb.10:
	v_cmp_eq_u32_e32 vcc, v3, v2
	v_cmp_gt_i32_e64 s[2:3], s29, v3
	s_and_b64 s[16:17], vcc, s[2:3]
	s_and_saveexec_b64 s[2:3], s[16:17]
	s_cbranch_execz .LBB2_12
; %bb.11:
	v_ashrrev_i32_e32 v1, 31, v3
	v_mul_lo_u32 v10, s15, v3
	v_mul_lo_u32 v11, s14, v1
	v_mad_u64_u32 v[8:9], s[16:17], s14, v3, 0
	v_add3_u32 v9, v9, v11, v10
	v_lshl_add_u64 v[8:9], v[8:9], 4, s[8:9]
	global_load_dwordx4 v[8:11], v[8:9], off
	v_mul_lo_u32 v14, s23, v3
	v_mul_lo_u32 v1, s22, v1
	v_mad_u64_u32 v[12:13], s[16:17], s22, v3, 0
	v_add3_u32 v13, v13, v1, v14
	v_lshl_add_u64 v[24:25], v[12:13], 4, s[6:7]
	v_ashrrev_i32_e32 v1, 31, v0
	global_load_dwordx4 v[12:15], v[24:25], off
	global_load_dwordx4 v[16:19], v[6:7], off
	;; [unrolled: 1-line block ×3, first 2 shown]
	v_lshl_add_u64 v[24:25], v[0:1], 4, s[4:5]
	global_load_dwordx2 v[26:27], v[24:25], off
	s_waitcnt vmcnt(4)
	v_mul_f64 v[28:29], s[26:27], v[10:11]
	v_mul_f64 v[10:11], s[24:25], v[10:11]
	v_fmac_f64_e32 v[10:11], s[26:27], v[8:9]
	v_fma_f64 v[28:29], s[24:25], v[8:9], -v[28:29]
	s_waitcnt vmcnt(3)
	v_mul_f64 v[30:31], s[26:27], v[14:15]
	v_mul_f64 v[32:33], s[26:27], v[12:13]
	v_fmac_f64_e32 v[30:31], s[24:25], v[12:13]
	v_fma_f64 v[8:9], s[24:25], v[14:15], -v[32:33]
	s_waitcnt vmcnt(2)
	v_mul_f64 v[12:13], v[18:19], v[10:11]
	v_mul_f64 v[14:15], v[18:19], v[28:29]
	s_waitcnt vmcnt(1)
	v_mul_f64 v[18:19], v[22:23], v[8:9]
	v_mul_f64 v[22:23], v[22:23], v[30:31]
	v_fmac_f64_e32 v[12:13], v[16:17], v[28:29]
	v_fma_f64 v[10:11], v[16:17], v[10:11], -v[14:15]
	v_fmac_f64_e32 v[18:19], v[20:21], v[30:31]
	v_fma_f64 v[14:15], v[20:21], v[8:9], -v[22:23]
	s_waitcnt vmcnt(0)
	v_add_f64 v[8:9], v[26:27], v[12:13]
	v_add_f64 v[8:9], v[8:9], v[18:19]
	;; [unrolled: 1-line block ×3, first 2 shown]
	global_store_dwordx4 v[24:25], v[8:11], off
.LBB2_12:
	s_or_b64 exec, exec, s[2:3]
	s_andn2_b64 s[10:11], s[10:11], exec
.LBB2_13:
	s_or_b64 exec, exec, s[12:13]
	v_ashrrev_i32_e32 v1, 31, v0
	s_and_saveexec_b64 s[2:3], s[10:11]
	s_cbranch_execz .LBB2_15
; %bb.14:
	v_ashrrev_i32_e32 v12, 31, v3
	v_mul_lo_u32 v10, s15, v3
	v_mul_lo_u32 v11, s14, v12
	v_mad_u64_u32 v[8:9], s[10:11], s14, v3, 0
	v_add3_u32 v9, v9, v11, v10
	v_lshl_add_u64 v[8:9], v[8:9], 4, s[8:9]
	v_mul_lo_u32 v14, s23, v3
	v_mul_lo_u32 v15, s22, v12
	v_mad_u64_u32 v[12:13], s[10:11], s22, v3, 0
	global_load_dwordx4 v[8:11], v[8:9], off
	v_add3_u32 v13, v13, v15, v14
	v_lshl_add_u64 v[24:25], v[12:13], 4, s[6:7]
	global_load_dwordx4 v[12:15], v[24:25], off
	global_load_dwordx4 v[16:19], v[6:7], off
	;; [unrolled: 1-line block ×3, first 2 shown]
	v_lshl_add_u64 v[28:29], v[0:1], 4, s[4:5]
	global_load_dwordx4 v[24:27], v[28:29], off
	s_waitcnt vmcnt(4)
	v_mul_f64 v[30:31], s[26:27], v[10:11]
	v_mul_f64 v[10:11], s[24:25], v[10:11]
	s_waitcnt vmcnt(3)
	v_mul_f64 v[32:33], s[26:27], v[14:15]
	v_mul_f64 v[34:35], s[26:27], v[12:13]
	v_fma_f64 v[30:31], s[24:25], v[8:9], -v[30:31]
	v_fmac_f64_e32 v[10:11], s[26:27], v[8:9]
	v_fmac_f64_e32 v[32:33], s[24:25], v[12:13]
	v_fma_f64 v[8:9], s[24:25], v[14:15], -v[34:35]
	s_waitcnt vmcnt(2)
	v_mul_f64 v[12:13], v[18:19], v[10:11]
	v_mul_f64 v[14:15], v[18:19], v[30:31]
	s_waitcnt vmcnt(1)
	v_mul_f64 v[18:19], v[22:23], v[8:9]
	v_mul_f64 v[22:23], v[22:23], v[32:33]
	v_fmac_f64_e32 v[12:13], v[16:17], v[30:31]
	v_fma_f64 v[10:11], v[16:17], v[10:11], -v[14:15]
	v_fmac_f64_e32 v[18:19], v[20:21], v[32:33]
	v_fma_f64 v[8:9], v[20:21], v[8:9], -v[22:23]
	v_add_f64 v[12:13], v[12:13], v[18:19]
	v_add_f64 v[10:11], v[10:11], v[8:9]
	s_waitcnt vmcnt(0)
	v_add_f64 v[8:9], v[24:25], v[12:13]
	v_add_f64 v[10:11], v[26:27], v[10:11]
	global_store_dwordx4 v[28:29], v[8:11], off
.LBB2_15:
	s_or_b64 exec, exec, s[2:3]
	v_add_u32_e32 v3, 64, v3
	s_andn2_b64 vcc, exec, s[30:31]
	v_cmp_gt_i32_e64 s[2:3], s29, v3
	s_cbranch_vccnz .LBB2_17
; %bb.16:
	v_cmp_lt_i32_e32 vcc, v2, v3
	s_and_b64 s[2:3], s[2:3], vcc
	s_xor_b64 s[12:13], s[2:3], -1
	s_and_b64 s[2:3], s[2:3], exec
	s_and_b64 s[12:13], s[12:13], exec
	s_cbranch_execz .LBB2_18
	s_branch .LBB2_19
.LBB2_17:
	s_mov_b64 s[12:13], 0
	s_mov_b64 s[2:3], 0
.LBB2_18:
	v_cmp_ge_i32_e32 vcc, v3, v2
	s_xor_b64 s[0:1], s[0:1], -1
	s_or_b64 s[0:1], s[0:1], vcc
	s_andn2_b64 s[10:11], s[12:13], exec
	s_and_b64 s[0:1], s[0:1], exec
	s_or_b64 s[2:3], s[2:3], exec
	s_or_b64 s[12:13], s[10:11], s[0:1]
.LBB2_19:
	s_and_saveexec_b64 s[10:11], s[12:13]
	s_cbranch_execnz .LBB2_23
; %bb.20:
	s_or_b64 exec, exec, s[10:11]
	s_and_saveexec_b64 s[0:1], s[2:3]
	s_cbranch_execz .LBB2_22
.LBB2_21:
	v_ashrrev_i32_e32 v2, 31, v3
	v_mul_lo_u32 v10, s15, v3
	v_mul_lo_u32 v11, s14, v2
	v_mad_u64_u32 v[8:9], s[0:1], s14, v3, 0
	v_add3_u32 v9, v9, v11, v10
	v_lshl_add_u64 v[8:9], v[8:9], 4, s[8:9]
	v_mul_lo_u32 v12, s23, v3
	v_mul_lo_u32 v13, s22, v2
	v_mad_u64_u32 v[2:3], s[0:1], s22, v3, 0
	global_load_dwordx4 v[8:11], v[8:9], off
	v_add3_u32 v3, v3, v13, v12
	v_lshl_add_u64 v[2:3], v[2:3], 4, s[6:7]
	global_load_dwordx4 v[12:15], v[2:3], off
	global_load_dwordx4 v[16:19], v[6:7], off
	;; [unrolled: 1-line block ×3, first 2 shown]
	v_lshl_add_u64 v[4:5], v[0:1], 4, s[4:5]
	global_load_dwordx4 v[0:3], v[4:5], off offset:1024
	s_waitcnt vmcnt(4)
	v_mul_f64 v[6:7], s[26:27], v[10:11]
	v_mul_f64 v[10:11], s[24:25], v[10:11]
	s_waitcnt vmcnt(3)
	v_mul_f64 v[24:25], s[26:27], v[14:15]
	v_mul_f64 v[26:27], s[26:27], v[12:13]
	v_fma_f64 v[6:7], s[24:25], v[8:9], -v[6:7]
	v_fmac_f64_e32 v[10:11], s[26:27], v[8:9]
	v_fmac_f64_e32 v[24:25], s[24:25], v[12:13]
	v_fma_f64 v[8:9], s[24:25], v[14:15], -v[26:27]
	s_waitcnt vmcnt(2)
	v_mul_f64 v[12:13], v[18:19], v[10:11]
	v_mul_f64 v[14:15], v[18:19], v[6:7]
	s_waitcnt vmcnt(1)
	v_mul_f64 v[18:19], v[22:23], v[8:9]
	v_mul_f64 v[22:23], v[22:23], v[24:25]
	v_fmac_f64_e32 v[12:13], v[16:17], v[6:7]
	v_fma_f64 v[6:7], v[16:17], v[10:11], -v[14:15]
	v_fmac_f64_e32 v[18:19], v[20:21], v[24:25]
	v_fma_f64 v[8:9], v[20:21], v[8:9], -v[22:23]
	v_add_f64 v[10:11], v[12:13], v[18:19]
	v_add_f64 v[6:7], v[6:7], v[8:9]
	s_waitcnt vmcnt(0)
	v_add_f64 v[0:1], v[0:1], v[10:11]
	v_add_f64 v[2:3], v[2:3], v[6:7]
	global_store_dwordx4 v[4:5], v[0:3], off offset:1024
.LBB2_22:
	s_endpgm
.LBB2_23:
	v_cmp_eq_u32_e32 vcc, v3, v2
	v_cmp_gt_i32_e64 s[0:1], s29, v3
	s_and_b64 s[12:13], vcc, s[0:1]
	s_and_saveexec_b64 s[0:1], s[12:13]
	s_cbranch_execz .LBB2_25
; %bb.24:
	global_load_dwordx4 v[8:11], v[4:5], off
	global_load_dwordx4 v[12:15], v[6:7], off
	v_lshl_add_u64 v[16:17], v[0:1], 4, s[4:5]
	global_load_dwordx2 v[18:19], v[16:17], off offset:1024
	s_waitcnt vmcnt(2)
	v_mul_f64 v[22:23], s[24:25], v[10:11]
	v_mul_f64 v[20:21], s[26:27], v[10:11]
	s_waitcnt vmcnt(1)
	v_mul_f64 v[24:25], s[26:27], v[14:15]
	v_mul_f64 v[26:27], s[26:27], v[12:13]
	v_fmac_f64_e32 v[22:23], s[26:27], v[8:9]
	v_fma_f64 v[20:21], s[24:25], v[8:9], -v[20:21]
	v_fmac_f64_e32 v[24:25], s[24:25], v[12:13]
	v_fma_f64 v[26:27], s[24:25], v[14:15], -v[26:27]
	v_mul_f64 v[28:29], v[14:15], v[22:23]
	v_mul_f64 v[14:15], v[14:15], v[20:21]
	;; [unrolled: 1-line block ×4, first 2 shown]
	v_fmac_f64_e32 v[28:29], v[12:13], v[20:21]
	v_fma_f64 v[12:13], v[12:13], v[22:23], -v[14:15]
	v_fmac_f64_e32 v[30:31], v[8:9], v[24:25]
	v_fma_f64 v[10:11], v[8:9], v[26:27], -v[10:11]
	s_waitcnt vmcnt(0)
	v_add_f64 v[8:9], v[18:19], v[28:29]
	v_add_f64 v[8:9], v[8:9], v[30:31]
	;; [unrolled: 1-line block ×3, first 2 shown]
	global_store_dwordx4 v[16:17], v[8:11], off offset:1024
.LBB2_25:
	s_or_b64 exec, exec, s[0:1]
	s_andn2_b64 s[2:3], s[2:3], exec
	s_or_b64 exec, exec, s[10:11]
	s_and_saveexec_b64 s[0:1], s[2:3]
	s_cbranch_execnz .LBB2_21
	s_branch .LBB2_22
	.section	.rodata,"a",@progbits
	.p2align	6, 0x0
	.amdhsa_kernel _ZL19rocblas_hpr2_kernelILi64ELi16ELi2EPK19rocblas_complex_numIdES3_PS1_EvbiT2_T3_lllS6_lllT4_lli
		.amdhsa_group_segment_fixed_size 0
		.amdhsa_private_segment_fixed_size 0
		.amdhsa_kernarg_size 108
		.amdhsa_user_sgpr_count 2
		.amdhsa_user_sgpr_dispatch_ptr 0
		.amdhsa_user_sgpr_queue_ptr 0
		.amdhsa_user_sgpr_kernarg_segment_ptr 1
		.amdhsa_user_sgpr_dispatch_id 0
		.amdhsa_user_sgpr_kernarg_preload_length 0
		.amdhsa_user_sgpr_kernarg_preload_offset 0
		.amdhsa_user_sgpr_private_segment_size 0
		.amdhsa_uses_dynamic_stack 0
		.amdhsa_enable_private_segment 0
		.amdhsa_system_sgpr_workgroup_id_x 1
		.amdhsa_system_sgpr_workgroup_id_y 1
		.amdhsa_system_sgpr_workgroup_id_z 1
		.amdhsa_system_sgpr_workgroup_info 0
		.amdhsa_system_vgpr_workitem_id 1
		.amdhsa_next_free_vgpr 36
		.amdhsa_next_free_sgpr 44
		.amdhsa_accum_offset 36
		.amdhsa_reserve_vcc 1
		.amdhsa_float_round_mode_32 0
		.amdhsa_float_round_mode_16_64 0
		.amdhsa_float_denorm_mode_32 3
		.amdhsa_float_denorm_mode_16_64 3
		.amdhsa_dx10_clamp 1
		.amdhsa_ieee_mode 1
		.amdhsa_fp16_overflow 0
		.amdhsa_tg_split 0
		.amdhsa_exception_fp_ieee_invalid_op 0
		.amdhsa_exception_fp_denorm_src 0
		.amdhsa_exception_fp_ieee_div_zero 0
		.amdhsa_exception_fp_ieee_overflow 0
		.amdhsa_exception_fp_ieee_underflow 0
		.amdhsa_exception_fp_ieee_inexact 0
		.amdhsa_exception_int_div_zero 0
	.end_amdhsa_kernel
	.section	.text._ZL19rocblas_hpr2_kernelILi64ELi16ELi2EPK19rocblas_complex_numIdES3_PS1_EvbiT2_T3_lllS6_lllT4_lli,"axG",@progbits,_ZL19rocblas_hpr2_kernelILi64ELi16ELi2EPK19rocblas_complex_numIdES3_PS1_EvbiT2_T3_lllS6_lllT4_lli,comdat
.Lfunc_end2:
	.size	_ZL19rocblas_hpr2_kernelILi64ELi16ELi2EPK19rocblas_complex_numIdES3_PS1_EvbiT2_T3_lllS6_lllT4_lli, .Lfunc_end2-_ZL19rocblas_hpr2_kernelILi64ELi16ELi2EPK19rocblas_complex_numIdES3_PS1_EvbiT2_T3_lllS6_lllT4_lli
                                        ; -- End function
	.set _ZL19rocblas_hpr2_kernelILi64ELi16ELi2EPK19rocblas_complex_numIdES3_PS1_EvbiT2_T3_lllS6_lllT4_lli.num_vgpr, 36
	.set _ZL19rocblas_hpr2_kernelILi64ELi16ELi2EPK19rocblas_complex_numIdES3_PS1_EvbiT2_T3_lllS6_lllT4_lli.num_agpr, 0
	.set _ZL19rocblas_hpr2_kernelILi64ELi16ELi2EPK19rocblas_complex_numIdES3_PS1_EvbiT2_T3_lllS6_lllT4_lli.numbered_sgpr, 44
	.set _ZL19rocblas_hpr2_kernelILi64ELi16ELi2EPK19rocblas_complex_numIdES3_PS1_EvbiT2_T3_lllS6_lllT4_lli.num_named_barrier, 0
	.set _ZL19rocblas_hpr2_kernelILi64ELi16ELi2EPK19rocblas_complex_numIdES3_PS1_EvbiT2_T3_lllS6_lllT4_lli.private_seg_size, 0
	.set _ZL19rocblas_hpr2_kernelILi64ELi16ELi2EPK19rocblas_complex_numIdES3_PS1_EvbiT2_T3_lllS6_lllT4_lli.uses_vcc, 1
	.set _ZL19rocblas_hpr2_kernelILi64ELi16ELi2EPK19rocblas_complex_numIdES3_PS1_EvbiT2_T3_lllS6_lllT4_lli.uses_flat_scratch, 0
	.set _ZL19rocblas_hpr2_kernelILi64ELi16ELi2EPK19rocblas_complex_numIdES3_PS1_EvbiT2_T3_lllS6_lllT4_lli.has_dyn_sized_stack, 0
	.set _ZL19rocblas_hpr2_kernelILi64ELi16ELi2EPK19rocblas_complex_numIdES3_PS1_EvbiT2_T3_lllS6_lllT4_lli.has_recursion, 0
	.set _ZL19rocblas_hpr2_kernelILi64ELi16ELi2EPK19rocblas_complex_numIdES3_PS1_EvbiT2_T3_lllS6_lllT4_lli.has_indirect_call, 0
	.section	.AMDGPU.csdata,"",@progbits
; Kernel info:
; codeLenInByte = 1816
; TotalNumSgprs: 50
; NumVgprs: 36
; NumAgprs: 0
; TotalNumVgprs: 36
; ScratchSize: 0
; MemoryBound: 0
; FloatMode: 240
; IeeeMode: 1
; LDSByteSize: 0 bytes/workgroup (compile time only)
; SGPRBlocks: 6
; VGPRBlocks: 4
; NumSGPRsForWavesPerEU: 50
; NumVGPRsForWavesPerEU: 36
; AccumOffset: 36
; Occupancy: 8
; WaveLimiterHint : 0
; COMPUTE_PGM_RSRC2:SCRATCH_EN: 0
; COMPUTE_PGM_RSRC2:USER_SGPR: 2
; COMPUTE_PGM_RSRC2:TRAP_HANDLER: 0
; COMPUTE_PGM_RSRC2:TGID_X_EN: 1
; COMPUTE_PGM_RSRC2:TGID_Y_EN: 1
; COMPUTE_PGM_RSRC2:TGID_Z_EN: 1
; COMPUTE_PGM_RSRC2:TIDIG_COMP_CNT: 1
; COMPUTE_PGM_RSRC3_GFX90A:ACCUM_OFFSET: 8
; COMPUTE_PGM_RSRC3_GFX90A:TG_SPLIT: 0
	.section	.text._ZL19rocblas_hpr2_kernelILi64ELi16ELi2E19rocblas_complex_numIdEPKS1_PS1_EvbiT2_T3_lllS6_lllT4_lli,"axG",@progbits,_ZL19rocblas_hpr2_kernelILi64ELi16ELi2E19rocblas_complex_numIdEPKS1_PS1_EvbiT2_T3_lllS6_lllT4_lli,comdat
	.globl	_ZL19rocblas_hpr2_kernelILi64ELi16ELi2E19rocblas_complex_numIdEPKS1_PS1_EvbiT2_T3_lllS6_lllT4_lli ; -- Begin function _ZL19rocblas_hpr2_kernelILi64ELi16ELi2E19rocblas_complex_numIdEPKS1_PS1_EvbiT2_T3_lllS6_lllT4_lli
	.p2align	8
	.type	_ZL19rocblas_hpr2_kernelILi64ELi16ELi2E19rocblas_complex_numIdEPKS1_PS1_EvbiT2_T3_lllS6_lllT4_lli,@function
_ZL19rocblas_hpr2_kernelILi64ELi16ELi2E19rocblas_complex_numIdEPKS1_PS1_EvbiT2_T3_lllS6_lllT4_lli: ; @_ZL19rocblas_hpr2_kernelILi64ELi16ELi2E19rocblas_complex_numIdEPKS1_PS1_EvbiT2_T3_lllS6_lllT4_lli
; %bb.0:
	s_load_dwordx16 s[8:23], s[0:1], 0x8
	s_waitcnt lgkmcnt(0)
	v_cmp_neq_f64_e64 s[6:7], s[8:9], 0
	v_cmp_neq_f64_e64 s[24:25], s[10:11], 0
	s_or_b64 s[6:7], s[6:7], s[24:25]
	s_andn2_b64 vcc, exec, s[6:7]
	s_cbranch_vccnz .LBB3_22
; %bb.1:
	s_load_dwordx2 s[34:35], s[0:1], 0x0
	v_and_b32_e32 v1, 0x3ff, v0
	v_bfe_u32 v0, v0, 10, 10
	s_mov_b64 s[6:7], -1
	v_lshl_add_u32 v3, s2, 7, v1
	s_waitcnt lgkmcnt(0)
	s_bitcmp1_b32 s34, 0
	s_cselect_b64 s[24:25], -1, 0
	s_xor_b64 s[36:37], s[24:25], -1
	v_lshl_add_u32 v2, s3, 4, v0
	s_and_b64 vcc, exec, s[36:37]
                                        ; implicit-def: $vgpr0
	s_cbranch_vccz .LBB3_3
; %bb.2:
	s_lshl_b32 s2, s35, 1
	v_sub_u32_e32 v0, s2, v2
	v_mad_u64_u32 v[0:1], s[2:3], v2, v0, v[2:3]
	v_lshrrev_b32_e32 v1, 31, v0
	v_add_u32_e32 v0, v0, v1
	v_ashrrev_i32_e32 v0, 1, v0
	v_sub_u32_e32 v1, v3, v2
	v_add_u32_e32 v0, v1, v0
	s_mov_b64 s[6:7], 0
.LBB3_3:
	s_andn2_b64 vcc, exec, s[6:7]
	s_cbranch_vccnz .LBB3_5
; %bb.4:
	v_mad_u64_u32 v[0:1], s[2:3], v2, v2, v[2:3]
	v_lshrrev_b32_e32 v1, 31, v0
	v_add_u32_e32 v0, v0, v1
	v_ashrrev_i32_e32 v0, 1, v0
	v_add_u32_e32 v0, v0, v3
.LBB3_5:
	s_load_dwordx8 s[24:31], s[0:1], 0x48
	s_load_dwordx2 s[2:3], s[0:1], 0x68
	s_mul_i32 s0, s19, s4
	s_mul_hi_u32 s1, s18, s4
	s_add_i32 s1, s1, s0
	s_mul_i32 s0, s18, s4
	s_lshl_b64 s[0:1], s[0:1], 4
	s_add_u32 s5, s12, s0
	s_addc_u32 s6, s13, s1
	s_lshl_b64 s[0:1], s[14:15], 4
	s_add_u32 s12, s5, s0
	s_addc_u32 s13, s6, s1
	s_waitcnt lgkmcnt(0)
	s_mul_i32 s0, s27, s4
	s_mul_hi_u32 s1, s26, s4
	s_add_i32 s1, s1, s0
	s_mul_i32 s0, s26, s4
	s_lshl_b64 s[0:1], s[0:1], 4
	s_add_u32 s5, s20, s0
	s_addc_u32 s7, s21, s1
	s_lshl_b64 s[0:1], s[22:23], 4
	s_add_u32 s6, s5, s0
	s_addc_u32 s7, s7, s1
	s_mul_i32 s0, s3, s4
	s_mul_hi_u32 s1, s2, s4
	s_add_i32 s1, s1, s0
	s_mul_i32 s0, s2, s4
	s_lshl_b64 s[0:1], s[0:1], 4
	s_add_u32 s2, s28, s0
	s_addc_u32 s3, s29, s1
	s_lshl_b64 s[0:1], s[30:31], 4
	s_add_u32 s4, s2, s0
	v_ashrrev_i32_e32 v1, 31, v2
	s_addc_u32 s5, s3, s1
	v_mul_lo_u32 v6, s25, v2
	v_mul_lo_u32 v7, s24, v1
	v_mad_u64_u32 v[4:5], s[2:3], s24, v2, 0
	v_add3_u32 v5, v5, v7, v6
	v_mul_lo_u32 v6, s17, v2
	v_mul_lo_u32 v1, s16, v1
	v_mad_u64_u32 v[8:9], s[2:3], s16, v2, 0
	v_cmp_gt_i32_e64 s[0:1], s35, v2
	v_add3_u32 v9, v9, v1, v6
	s_and_b64 vcc, exec, s[36:37]
	s_cbranch_vccz .LBB3_7
; %bb.6:
	v_cmp_le_i32_e32 vcc, s35, v3
	v_cmp_le_i32_e64 s[2:3], v3, v2
	s_or_b64 s[2:3], s[2:3], vcc
	s_mov_b64 s[14:15], -1
	s_and_b64 s[2:3], s[2:3], exec
	s_cbranch_execz .LBB3_8
	s_branch .LBB3_9
.LBB3_7:
	s_mov_b64 s[2:3], 0
	s_mov_b64 s[14:15], 0
.LBB3_8:
	v_cmp_lt_i32_e32 vcc, v3, v2
	s_and_b64 s[18:19], vcc, s[0:1]
	s_xor_b64 s[20:21], s[18:19], -1
	s_andn2_b64 s[14:15], s[14:15], exec
	s_and_b64 s[18:19], s[18:19], exec
	s_or_b64 s[14:15], s[14:15], s[18:19]
	s_andn2_b64 s[2:3], s[2:3], exec
	s_and_b64 s[18:19], s[20:21], exec
	s_or_b64 s[2:3], s[2:3], s[18:19]
.LBB3_9:
	v_lshl_add_u64 v[6:7], v[4:5], 4, s[6:7]
	v_lshl_add_u64 v[4:5], v[8:9], 4, s[12:13]
	s_and_saveexec_b64 s[18:19], s[2:3]
	s_xor_b64 s[18:19], exec, s[18:19]
	s_cbranch_execz .LBB3_13
; %bb.10:
	v_cmp_eq_u32_e32 vcc, v3, v2
	v_cmp_gt_i32_e64 s[2:3], s35, v3
	s_and_b64 s[20:21], vcc, s[2:3]
	s_and_saveexec_b64 s[2:3], s[20:21]
	s_cbranch_execz .LBB3_12
; %bb.11:
	v_ashrrev_i32_e32 v1, 31, v3
	v_mul_lo_u32 v10, s17, v3
	v_mul_lo_u32 v11, s16, v1
	v_mad_u64_u32 v[8:9], s[20:21], s16, v3, 0
	v_add3_u32 v9, v9, v11, v10
	v_lshl_add_u64 v[8:9], v[8:9], 4, s[12:13]
	global_load_dwordx4 v[8:11], v[8:9], off
	v_mul_lo_u32 v14, s25, v3
	v_mul_lo_u32 v1, s24, v1
	v_mad_u64_u32 v[12:13], s[20:21], s24, v3, 0
	v_add3_u32 v13, v13, v1, v14
	v_lshl_add_u64 v[24:25], v[12:13], 4, s[6:7]
	v_ashrrev_i32_e32 v1, 31, v0
	global_load_dwordx4 v[12:15], v[24:25], off
	global_load_dwordx4 v[16:19], v[6:7], off
	;; [unrolled: 1-line block ×3, first 2 shown]
	v_lshl_add_u64 v[24:25], v[0:1], 4, s[4:5]
	global_load_dwordx2 v[26:27], v[24:25], off
	s_waitcnt vmcnt(4)
	v_mul_f64 v[28:29], s[10:11], v[10:11]
	v_mul_f64 v[10:11], s[8:9], v[10:11]
	v_fmac_f64_e32 v[10:11], s[10:11], v[8:9]
	v_fma_f64 v[28:29], s[8:9], v[8:9], -v[28:29]
	s_waitcnt vmcnt(3)
	v_mul_f64 v[30:31], s[10:11], v[14:15]
	v_mul_f64 v[32:33], s[10:11], v[12:13]
	v_fmac_f64_e32 v[30:31], s[8:9], v[12:13]
	v_fma_f64 v[8:9], s[8:9], v[14:15], -v[32:33]
	s_waitcnt vmcnt(2)
	v_mul_f64 v[12:13], v[18:19], v[10:11]
	v_mul_f64 v[14:15], v[18:19], v[28:29]
	s_waitcnt vmcnt(1)
	v_mul_f64 v[18:19], v[22:23], v[8:9]
	v_mul_f64 v[22:23], v[22:23], v[30:31]
	v_fmac_f64_e32 v[12:13], v[16:17], v[28:29]
	v_fma_f64 v[10:11], v[16:17], v[10:11], -v[14:15]
	v_fmac_f64_e32 v[18:19], v[20:21], v[30:31]
	v_fma_f64 v[14:15], v[20:21], v[8:9], -v[22:23]
	s_waitcnt vmcnt(0)
	v_add_f64 v[8:9], v[26:27], v[12:13]
	v_add_f64 v[8:9], v[8:9], v[18:19]
	;; [unrolled: 1-line block ×3, first 2 shown]
	global_store_dwordx4 v[24:25], v[8:11], off
.LBB3_12:
	s_or_b64 exec, exec, s[2:3]
	s_andn2_b64 s[14:15], s[14:15], exec
.LBB3_13:
	s_or_b64 exec, exec, s[18:19]
	v_ashrrev_i32_e32 v1, 31, v0
	s_and_saveexec_b64 s[2:3], s[14:15]
	s_cbranch_execz .LBB3_15
; %bb.14:
	v_ashrrev_i32_e32 v12, 31, v3
	v_mul_lo_u32 v10, s17, v3
	v_mul_lo_u32 v11, s16, v12
	v_mad_u64_u32 v[8:9], s[14:15], s16, v3, 0
	v_add3_u32 v9, v9, v11, v10
	v_lshl_add_u64 v[8:9], v[8:9], 4, s[12:13]
	v_mul_lo_u32 v14, s25, v3
	v_mul_lo_u32 v15, s24, v12
	v_mad_u64_u32 v[12:13], s[14:15], s24, v3, 0
	global_load_dwordx4 v[8:11], v[8:9], off
	v_add3_u32 v13, v13, v15, v14
	v_lshl_add_u64 v[24:25], v[12:13], 4, s[6:7]
	global_load_dwordx4 v[12:15], v[24:25], off
	global_load_dwordx4 v[16:19], v[6:7], off
	;; [unrolled: 1-line block ×3, first 2 shown]
	v_lshl_add_u64 v[28:29], v[0:1], 4, s[4:5]
	global_load_dwordx4 v[24:27], v[28:29], off
	s_waitcnt vmcnt(4)
	v_mul_f64 v[30:31], s[10:11], v[10:11]
	v_mul_f64 v[10:11], s[8:9], v[10:11]
	s_waitcnt vmcnt(3)
	v_mul_f64 v[32:33], s[10:11], v[14:15]
	v_mul_f64 v[34:35], s[10:11], v[12:13]
	v_fma_f64 v[30:31], s[8:9], v[8:9], -v[30:31]
	v_fmac_f64_e32 v[10:11], s[10:11], v[8:9]
	v_fmac_f64_e32 v[32:33], s[8:9], v[12:13]
	v_fma_f64 v[8:9], s[8:9], v[14:15], -v[34:35]
	s_waitcnt vmcnt(2)
	v_mul_f64 v[12:13], v[18:19], v[10:11]
	v_mul_f64 v[14:15], v[18:19], v[30:31]
	s_waitcnt vmcnt(1)
	v_mul_f64 v[18:19], v[22:23], v[8:9]
	v_mul_f64 v[22:23], v[22:23], v[32:33]
	v_fmac_f64_e32 v[12:13], v[16:17], v[30:31]
	v_fma_f64 v[10:11], v[16:17], v[10:11], -v[14:15]
	v_fmac_f64_e32 v[18:19], v[20:21], v[32:33]
	v_fma_f64 v[8:9], v[20:21], v[8:9], -v[22:23]
	v_add_f64 v[12:13], v[12:13], v[18:19]
	v_add_f64 v[10:11], v[10:11], v[8:9]
	s_waitcnt vmcnt(0)
	v_add_f64 v[8:9], v[24:25], v[12:13]
	v_add_f64 v[10:11], v[26:27], v[10:11]
	global_store_dwordx4 v[28:29], v[8:11], off
.LBB3_15:
	s_or_b64 exec, exec, s[2:3]
	v_add_u32_e32 v3, 64, v3
	s_andn2_b64 vcc, exec, s[36:37]
	v_cmp_gt_i32_e64 s[2:3], s35, v3
	s_cbranch_vccnz .LBB3_17
; %bb.16:
	v_cmp_lt_i32_e32 vcc, v2, v3
	s_and_b64 s[2:3], s[2:3], vcc
	s_xor_b64 s[18:19], s[2:3], -1
	s_and_b64 s[2:3], s[2:3], exec
	s_and_b64 s[18:19], s[18:19], exec
	s_cbranch_execz .LBB3_18
	s_branch .LBB3_19
.LBB3_17:
	s_mov_b64 s[18:19], 0
	s_mov_b64 s[2:3], 0
.LBB3_18:
	v_cmp_ge_i32_e32 vcc, v3, v2
	s_xor_b64 s[0:1], s[0:1], -1
	s_or_b64 s[0:1], s[0:1], vcc
	s_andn2_b64 s[14:15], s[18:19], exec
	s_and_b64 s[0:1], s[0:1], exec
	s_or_b64 s[2:3], s[2:3], exec
	s_or_b64 s[18:19], s[14:15], s[0:1]
.LBB3_19:
	s_and_saveexec_b64 s[14:15], s[18:19]
	s_cbranch_execnz .LBB3_23
; %bb.20:
	s_or_b64 exec, exec, s[14:15]
	s_and_saveexec_b64 s[0:1], s[2:3]
	s_cbranch_execz .LBB3_22
.LBB3_21:
	v_ashrrev_i32_e32 v2, 31, v3
	v_mul_lo_u32 v10, s17, v3
	v_mul_lo_u32 v11, s16, v2
	v_mad_u64_u32 v[8:9], s[0:1], s16, v3, 0
	v_add3_u32 v9, v9, v11, v10
	v_lshl_add_u64 v[8:9], v[8:9], 4, s[12:13]
	v_mul_lo_u32 v12, s25, v3
	v_mul_lo_u32 v13, s24, v2
	v_mad_u64_u32 v[2:3], s[0:1], s24, v3, 0
	global_load_dwordx4 v[8:11], v[8:9], off
	v_add3_u32 v3, v3, v13, v12
	v_lshl_add_u64 v[2:3], v[2:3], 4, s[6:7]
	global_load_dwordx4 v[12:15], v[2:3], off
	global_load_dwordx4 v[16:19], v[6:7], off
	;; [unrolled: 1-line block ×3, first 2 shown]
	v_lshl_add_u64 v[4:5], v[0:1], 4, s[4:5]
	global_load_dwordx4 v[0:3], v[4:5], off offset:1024
	s_waitcnt vmcnt(4)
	v_mul_f64 v[6:7], s[10:11], v[10:11]
	v_mul_f64 v[10:11], s[8:9], v[10:11]
	s_waitcnt vmcnt(3)
	v_mul_f64 v[24:25], s[10:11], v[14:15]
	v_mul_f64 v[26:27], s[10:11], v[12:13]
	v_fma_f64 v[6:7], s[8:9], v[8:9], -v[6:7]
	v_fmac_f64_e32 v[10:11], s[10:11], v[8:9]
	v_fmac_f64_e32 v[24:25], s[8:9], v[12:13]
	v_fma_f64 v[8:9], s[8:9], v[14:15], -v[26:27]
	s_waitcnt vmcnt(2)
	v_mul_f64 v[12:13], v[18:19], v[10:11]
	v_mul_f64 v[14:15], v[18:19], v[6:7]
	s_waitcnt vmcnt(1)
	v_mul_f64 v[18:19], v[22:23], v[8:9]
	v_mul_f64 v[22:23], v[22:23], v[24:25]
	v_fmac_f64_e32 v[12:13], v[16:17], v[6:7]
	v_fma_f64 v[6:7], v[16:17], v[10:11], -v[14:15]
	v_fmac_f64_e32 v[18:19], v[20:21], v[24:25]
	v_fma_f64 v[8:9], v[20:21], v[8:9], -v[22:23]
	v_add_f64 v[10:11], v[12:13], v[18:19]
	v_add_f64 v[6:7], v[6:7], v[8:9]
	s_waitcnt vmcnt(0)
	v_add_f64 v[0:1], v[0:1], v[10:11]
	v_add_f64 v[2:3], v[2:3], v[6:7]
	global_store_dwordx4 v[4:5], v[0:3], off offset:1024
.LBB3_22:
	s_endpgm
.LBB3_23:
	v_cmp_eq_u32_e32 vcc, v3, v2
	v_cmp_gt_i32_e64 s[0:1], s35, v3
	s_and_b64 s[18:19], vcc, s[0:1]
	s_and_saveexec_b64 s[0:1], s[18:19]
	s_cbranch_execz .LBB3_25
; %bb.24:
	global_load_dwordx4 v[8:11], v[4:5], off
	global_load_dwordx4 v[12:15], v[6:7], off
	v_lshl_add_u64 v[16:17], v[0:1], 4, s[4:5]
	global_load_dwordx2 v[18:19], v[16:17], off offset:1024
	s_waitcnt vmcnt(2)
	v_mul_f64 v[22:23], s[8:9], v[10:11]
	v_mul_f64 v[20:21], s[10:11], v[10:11]
	s_waitcnt vmcnt(1)
	v_mul_f64 v[24:25], s[10:11], v[14:15]
	v_mul_f64 v[26:27], s[10:11], v[12:13]
	v_fmac_f64_e32 v[22:23], s[10:11], v[8:9]
	v_fma_f64 v[20:21], s[8:9], v[8:9], -v[20:21]
	v_fmac_f64_e32 v[24:25], s[8:9], v[12:13]
	v_fma_f64 v[26:27], s[8:9], v[14:15], -v[26:27]
	v_mul_f64 v[28:29], v[14:15], v[22:23]
	v_mul_f64 v[14:15], v[14:15], v[20:21]
	;; [unrolled: 1-line block ×4, first 2 shown]
	v_fmac_f64_e32 v[28:29], v[12:13], v[20:21]
	v_fma_f64 v[12:13], v[12:13], v[22:23], -v[14:15]
	v_fmac_f64_e32 v[30:31], v[8:9], v[24:25]
	v_fma_f64 v[10:11], v[8:9], v[26:27], -v[10:11]
	s_waitcnt vmcnt(0)
	v_add_f64 v[8:9], v[18:19], v[28:29]
	v_add_f64 v[8:9], v[8:9], v[30:31]
	;; [unrolled: 1-line block ×3, first 2 shown]
	global_store_dwordx4 v[16:17], v[8:11], off offset:1024
.LBB3_25:
	s_or_b64 exec, exec, s[0:1]
	s_andn2_b64 s[2:3], s[2:3], exec
	s_or_b64 exec, exec, s[14:15]
	s_and_saveexec_b64 s[0:1], s[2:3]
	s_cbranch_execnz .LBB3_21
	s_branch .LBB3_22
	.section	.rodata,"a",@progbits
	.p2align	6, 0x0
	.amdhsa_kernel _ZL19rocblas_hpr2_kernelILi64ELi16ELi2E19rocblas_complex_numIdEPKS1_PS1_EvbiT2_T3_lllS6_lllT4_lli
		.amdhsa_group_segment_fixed_size 0
		.amdhsa_private_segment_fixed_size 0
		.amdhsa_kernarg_size 116
		.amdhsa_user_sgpr_count 2
		.amdhsa_user_sgpr_dispatch_ptr 0
		.amdhsa_user_sgpr_queue_ptr 0
		.amdhsa_user_sgpr_kernarg_segment_ptr 1
		.amdhsa_user_sgpr_dispatch_id 0
		.amdhsa_user_sgpr_kernarg_preload_length 0
		.amdhsa_user_sgpr_kernarg_preload_offset 0
		.amdhsa_user_sgpr_private_segment_size 0
		.amdhsa_uses_dynamic_stack 0
		.amdhsa_enable_private_segment 0
		.amdhsa_system_sgpr_workgroup_id_x 1
		.amdhsa_system_sgpr_workgroup_id_y 1
		.amdhsa_system_sgpr_workgroup_id_z 1
		.amdhsa_system_sgpr_workgroup_info 0
		.amdhsa_system_vgpr_workitem_id 1
		.amdhsa_next_free_vgpr 36
		.amdhsa_next_free_sgpr 38
		.amdhsa_accum_offset 36
		.amdhsa_reserve_vcc 1
		.amdhsa_float_round_mode_32 0
		.amdhsa_float_round_mode_16_64 0
		.amdhsa_float_denorm_mode_32 3
		.amdhsa_float_denorm_mode_16_64 3
		.amdhsa_dx10_clamp 1
		.amdhsa_ieee_mode 1
		.amdhsa_fp16_overflow 0
		.amdhsa_tg_split 0
		.amdhsa_exception_fp_ieee_invalid_op 0
		.amdhsa_exception_fp_denorm_src 0
		.amdhsa_exception_fp_ieee_div_zero 0
		.amdhsa_exception_fp_ieee_overflow 0
		.amdhsa_exception_fp_ieee_underflow 0
		.amdhsa_exception_fp_ieee_inexact 0
		.amdhsa_exception_int_div_zero 0
	.end_amdhsa_kernel
	.section	.text._ZL19rocblas_hpr2_kernelILi64ELi16ELi2E19rocblas_complex_numIdEPKS1_PS1_EvbiT2_T3_lllS6_lllT4_lli,"axG",@progbits,_ZL19rocblas_hpr2_kernelILi64ELi16ELi2E19rocblas_complex_numIdEPKS1_PS1_EvbiT2_T3_lllS6_lllT4_lli,comdat
.Lfunc_end3:
	.size	_ZL19rocblas_hpr2_kernelILi64ELi16ELi2E19rocblas_complex_numIdEPKS1_PS1_EvbiT2_T3_lllS6_lllT4_lli, .Lfunc_end3-_ZL19rocblas_hpr2_kernelILi64ELi16ELi2E19rocblas_complex_numIdEPKS1_PS1_EvbiT2_T3_lllS6_lllT4_lli
                                        ; -- End function
	.set _ZL19rocblas_hpr2_kernelILi64ELi16ELi2E19rocblas_complex_numIdEPKS1_PS1_EvbiT2_T3_lllS6_lllT4_lli.num_vgpr, 36
	.set _ZL19rocblas_hpr2_kernelILi64ELi16ELi2E19rocblas_complex_numIdEPKS1_PS1_EvbiT2_T3_lllS6_lllT4_lli.num_agpr, 0
	.set _ZL19rocblas_hpr2_kernelILi64ELi16ELi2E19rocblas_complex_numIdEPKS1_PS1_EvbiT2_T3_lllS6_lllT4_lli.numbered_sgpr, 38
	.set _ZL19rocblas_hpr2_kernelILi64ELi16ELi2E19rocblas_complex_numIdEPKS1_PS1_EvbiT2_T3_lllS6_lllT4_lli.num_named_barrier, 0
	.set _ZL19rocblas_hpr2_kernelILi64ELi16ELi2E19rocblas_complex_numIdEPKS1_PS1_EvbiT2_T3_lllS6_lllT4_lli.private_seg_size, 0
	.set _ZL19rocblas_hpr2_kernelILi64ELi16ELi2E19rocblas_complex_numIdEPKS1_PS1_EvbiT2_T3_lllS6_lllT4_lli.uses_vcc, 1
	.set _ZL19rocblas_hpr2_kernelILi64ELi16ELi2E19rocblas_complex_numIdEPKS1_PS1_EvbiT2_T3_lllS6_lllT4_lli.uses_flat_scratch, 0
	.set _ZL19rocblas_hpr2_kernelILi64ELi16ELi2E19rocblas_complex_numIdEPKS1_PS1_EvbiT2_T3_lllS6_lllT4_lli.has_dyn_sized_stack, 0
	.set _ZL19rocblas_hpr2_kernelILi64ELi16ELi2E19rocblas_complex_numIdEPKS1_PS1_EvbiT2_T3_lllS6_lllT4_lli.has_recursion, 0
	.set _ZL19rocblas_hpr2_kernelILi64ELi16ELi2E19rocblas_complex_numIdEPKS1_PS1_EvbiT2_T3_lllS6_lllT4_lli.has_indirect_call, 0
	.section	.AMDGPU.csdata,"",@progbits
; Kernel info:
; codeLenInByte = 1812
; TotalNumSgprs: 44
; NumVgprs: 36
; NumAgprs: 0
; TotalNumVgprs: 36
; ScratchSize: 0
; MemoryBound: 0
; FloatMode: 240
; IeeeMode: 1
; LDSByteSize: 0 bytes/workgroup (compile time only)
; SGPRBlocks: 5
; VGPRBlocks: 4
; NumSGPRsForWavesPerEU: 44
; NumVGPRsForWavesPerEU: 36
; AccumOffset: 36
; Occupancy: 8
; WaveLimiterHint : 0
; COMPUTE_PGM_RSRC2:SCRATCH_EN: 0
; COMPUTE_PGM_RSRC2:USER_SGPR: 2
; COMPUTE_PGM_RSRC2:TRAP_HANDLER: 0
; COMPUTE_PGM_RSRC2:TGID_X_EN: 1
; COMPUTE_PGM_RSRC2:TGID_Y_EN: 1
; COMPUTE_PGM_RSRC2:TGID_Z_EN: 1
; COMPUTE_PGM_RSRC2:TIDIG_COMP_CNT: 1
; COMPUTE_PGM_RSRC3_GFX90A:ACCUM_OFFSET: 8
; COMPUTE_PGM_RSRC3_GFX90A:TG_SPLIT: 0
	.section	.text._ZL19rocblas_hpr2_kernelILi64ELi16ELi2EPK19rocblas_complex_numIfEPKS3_PKPS1_EvbiT2_T3_lllSA_lllT4_lli,"axG",@progbits,_ZL19rocblas_hpr2_kernelILi64ELi16ELi2EPK19rocblas_complex_numIfEPKS3_PKPS1_EvbiT2_T3_lllSA_lllT4_lli,comdat
	.globl	_ZL19rocblas_hpr2_kernelILi64ELi16ELi2EPK19rocblas_complex_numIfEPKS3_PKPS1_EvbiT2_T3_lllSA_lllT4_lli ; -- Begin function _ZL19rocblas_hpr2_kernelILi64ELi16ELi2EPK19rocblas_complex_numIfEPKS3_PKPS1_EvbiT2_T3_lllSA_lllT4_lli
	.p2align	8
	.type	_ZL19rocblas_hpr2_kernelILi64ELi16ELi2EPK19rocblas_complex_numIfEPKS3_PKPS1_EvbiT2_T3_lllSA_lllT4_lli,@function
_ZL19rocblas_hpr2_kernelILi64ELi16ELi2EPK19rocblas_complex_numIfEPKS3_PKPS1_EvbiT2_T3_lllSA_lllT4_lli: ; @_ZL19rocblas_hpr2_kernelILi64ELi16ELi2EPK19rocblas_complex_numIfEPKS3_PKPS1_EvbiT2_T3_lllSA_lllT4_lli
; %bb.0:
	s_load_dwordx8 s[8:15], s[0:1], 0x8
	s_mov_b32 s5, 0
	s_waitcnt lgkmcnt(0)
	s_load_dwordx2 s[6:7], s[8:9], 0x0
	s_waitcnt lgkmcnt(0)
	v_cmp_neq_f32_e64 s[8:9], s6, 0
	v_cmp_neq_f32_e64 s[16:17], s7, 0
	s_or_b64 s[8:9], s[8:9], s[16:17]
	s_andn2_b64 vcc, exec, s[8:9]
	s_cbranch_vccnz .LBB4_22
; %bb.1:
	s_load_dwordx2 s[24:25], s[0:1], 0x0
	s_load_dwordx4 s[16:19], s[0:1], 0x30
	s_load_dwordx2 s[8:9], s[0:1], 0x40
	s_load_dwordx4 s[20:23], s[0:1], 0x50
	v_and_b32_e32 v1, 0x3ff, v0
	v_bfe_u32 v0, v0, 10, 10
	s_waitcnt lgkmcnt(0)
	s_bitcmp1_b32 s24, 0
	s_cselect_b64 s[0:1], -1, 0
	s_xor_b64 s[26:27], s[0:1], -1
	s_lshl_b64 s[30:31], s[4:5], 3
	s_add_u32 s0, s10, s30
	s_addc_u32 s1, s11, s31
	s_add_u32 s4, s16, s30
	s_addc_u32 s5, s17, s31
	;; [unrolled: 2-line block ×3, first 2 shown]
	s_load_dwordx2 s[0:1], s[0:1], 0x0
	s_mov_b64 s[28:29], -1
	s_load_dwordx2 s[4:5], s[4:5], 0x0
	v_lshl_add_u32 v3, s2, 7, v1
	s_load_dwordx2 s[16:17], s[10:11], 0x0
	v_lshl_add_u32 v2, s3, 4, v0
	s_and_b64 vcc, exec, s[26:27]
                                        ; implicit-def: $vgpr0
	s_cbranch_vccz .LBB4_3
; %bb.2:
	s_lshl_b32 s2, s25, 1
	v_sub_u32_e32 v0, s2, v2
	v_mad_u64_u32 v[0:1], s[2:3], v2, v0, v[2:3]
	v_lshrrev_b32_e32 v1, 31, v0
	v_add_u32_e32 v0, v0, v1
	v_ashrrev_i32_e32 v0, 1, v0
	v_sub_u32_e32 v1, v3, v2
	v_add_u32_e32 v0, v1, v0
	s_mov_b64 s[28:29], 0
.LBB4_3:
	s_andn2_b64 vcc, exec, s[28:29]
	s_cbranch_vccnz .LBB4_5
; %bb.4:
	v_mad_u64_u32 v[0:1], s[2:3], v2, v2, v[2:3]
	v_lshrrev_b32_e32 v1, 31, v0
	v_add_u32_e32 v0, v0, v1
	v_ashrrev_i32_e32 v0, 1, v0
	v_add_u32_e32 v0, v0, v3
.LBB4_5:
	s_lshl_b64 s[2:3], s[12:13], 3
	s_waitcnt lgkmcnt(0)
	s_add_u32 s12, s0, s2
	s_addc_u32 s13, s1, s3
	s_lshl_b64 s[0:1], s[18:19], 3
	s_add_u32 s10, s4, s0
	v_ashrrev_i32_e32 v1, 31, v2
	s_addc_u32 s11, s5, s1
	s_lshl_b64 s[0:1], s[22:23], 3
	v_mul_lo_u32 v6, s9, v2
	v_mul_lo_u32 v7, s8, v1
	v_mad_u64_u32 v[4:5], s[2:3], s8, v2, 0
	s_add_u32 s4, s16, s0
	v_add3_u32 v5, v5, v7, v6
	v_mul_lo_u32 v8, s15, v2
	v_mul_lo_u32 v1, s14, v1
	v_mad_u64_u32 v[6:7], s[2:3], s14, v2, 0
	s_addc_u32 s5, s17, s1
	v_cmp_gt_i32_e64 s[0:1], s25, v2
	v_add3_u32 v7, v7, v1, v8
	s_and_b64 vcc, exec, s[26:27]
	s_cbranch_vccz .LBB4_7
; %bb.6:
	v_cmp_le_i32_e32 vcc, s25, v3
	v_cmp_le_i32_e64 s[2:3], v3, v2
	s_or_b64 s[2:3], s[2:3], vcc
	s_mov_b64 s[18:19], -1
	s_and_b64 s[2:3], s[2:3], exec
	s_cbranch_execz .LBB4_8
	s_branch .LBB4_9
.LBB4_7:
	s_mov_b64 s[2:3], 0
	s_mov_b64 s[18:19], 0
.LBB4_8:
	v_cmp_lt_i32_e32 vcc, v3, v2
	s_and_b64 s[16:17], vcc, s[0:1]
	s_xor_b64 s[20:21], s[16:17], -1
	s_andn2_b64 s[18:19], s[18:19], exec
	s_and_b64 s[16:17], s[16:17], exec
	s_or_b64 s[18:19], s[18:19], s[16:17]
	s_andn2_b64 s[2:3], s[2:3], exec
	s_and_b64 s[16:17], s[20:21], exec
	s_or_b64 s[2:3], s[2:3], s[16:17]
.LBB4_9:
	s_mov_b32 s16, s7
	s_mov_b32 s17, s6
	v_lshl_add_u64 v[4:5], v[4:5], 3, s[10:11]
	v_lshl_add_u64 v[6:7], v[6:7], 3, s[12:13]
	s_and_saveexec_b64 s[20:21], s[2:3]
	s_xor_b64 s[20:21], exec, s[20:21]
	s_cbranch_execz .LBB4_13
; %bb.10:
	v_cmp_eq_u32_e32 vcc, v3, v2
	v_cmp_gt_i32_e64 s[2:3], s25, v3
	s_and_b64 s[22:23], vcc, s[2:3]
	s_and_saveexec_b64 s[2:3], s[22:23]
	s_cbranch_execz .LBB4_12
; %bb.11:
	v_ashrrev_i32_e32 v1, 31, v3
	v_mul_lo_u32 v10, s15, v3
	v_mul_lo_u32 v11, s14, v1
	v_mad_u64_u32 v[8:9], s[22:23], s14, v3, 0
	v_add3_u32 v9, v9, v11, v10
	v_lshl_add_u64 v[8:9], v[8:9], 3, s[12:13]
	flat_load_dwordx2 v[8:9], v[8:9]
	v_mul_lo_u32 v12, s9, v3
	v_mul_lo_u32 v1, s8, v1
	v_mad_u64_u32 v[10:11], s[22:23], s8, v3, 0
	v_add3_u32 v11, v11, v1, v12
	v_lshl_add_u64 v[10:11], v[10:11], 3, s[10:11]
	flat_load_dwordx2 v[12:13], v[10:11]
	flat_load_dwordx2 v[14:15], v[4:5]
	;; [unrolled: 1-line block ×3, first 2 shown]
	v_ashrrev_i32_e32 v1, 31, v0
	v_lshl_add_u64 v[10:11], v[0:1], 3, s[4:5]
	flat_load_dword v1, v[10:11]
	s_waitcnt vmcnt(0) lgkmcnt(0)
	v_pk_mul_f32 v[18:19], s[6:7], v[8:9] op_sel:[0,1]
	s_nop 0
	v_pk_fma_f32 v[22:23], s[16:17], v[8:9], v[18:19] op_sel_hi:[1,0,1]
	v_pk_fma_f32 v[8:9], s[16:17], v[8:9], v[18:19] op_sel_hi:[1,0,1] neg_lo:[0,0,1] neg_hi:[0,0,1]
	v_pk_mul_f32 v[20:21], s[6:7], v[12:13]
	v_pk_mul_f32 v[12:13], s[6:7], v[12:13] op_sel:[0,1] op_sel_hi:[1,0]
	v_pk_add_f32 v[18:19], v[20:21], v[20:21] op_sel:[0,1] op_sel_hi:[0,1]
	v_mov_b32_e32 v21, v9
	v_pk_mov_b32 v[8:9], v[8:9], v[22:23] op_sel:[1,0]
	v_pk_add_f32 v[12:13], v[12:13], v[12:13] op_sel:[0,1] op_sel_hi:[0,1] neg_lo:[0,1] neg_hi:[0,1]
	v_mov_b32_e32 v20, v22
	v_mul_f32_e32 v22, v14, v22
	v_pk_mul_f32 v[18:19], v[16:17], v[18:19]
	v_pk_mul_f32 v[8:9], v[14:15], v[8:9]
	v_pk_fma_f32 v[14:15], v[14:15], v[20:21], v[22:23] op_sel_hi:[1,1,0] neg_lo:[1,0,0] neg_hi:[1,0,0]
	v_pk_fma_f32 v[20:21], v[16:17], v[12:13], v[18:19] op_sel:[1,0,0] op_sel_hi:[0,1,1]
	v_pk_fma_f32 v[12:13], v[16:17], v[12:13], v[18:19] op_sel:[1,0,0] op_sel_hi:[0,1,1] neg_lo:[0,0,1] neg_hi:[0,0,1]
	v_add_f32_e32 v8, v8, v9
	v_add_f32_e32 v14, v1, v8
	v_mov_b32_e32 v21, v13
	v_pk_add_f32 v[8:9], v[14:15], v[20:21]
	flat_store_dwordx2 v[10:11], v[8:9]
.LBB4_12:
	s_or_b64 exec, exec, s[2:3]
	s_andn2_b64 s[18:19], s[18:19], exec
.LBB4_13:
	s_or_b64 exec, exec, s[20:21]
	v_ashrrev_i32_e32 v1, 31, v0
	s_and_saveexec_b64 s[2:3], s[18:19]
	s_cbranch_execz .LBB4_15
; %bb.14:
	v_ashrrev_i32_e32 v10, 31, v3
	v_mul_lo_u32 v11, s15, v3
	v_mul_lo_u32 v12, s14, v10
	v_mad_u64_u32 v[8:9], s[18:19], s14, v3, 0
	v_add3_u32 v9, v9, v12, v11
	v_lshl_add_u64 v[8:9], v[8:9], 3, s[12:13]
	v_mul_lo_u32 v12, s9, v3
	v_mul_lo_u32 v13, s8, v10
	v_mad_u64_u32 v[10:11], s[18:19], s8, v3, 0
	flat_load_dwordx2 v[8:9], v[8:9]
	v_add3_u32 v11, v11, v13, v12
	v_lshl_add_u64 v[10:11], v[10:11], 3, s[10:11]
	flat_load_dwordx2 v[12:13], v[10:11]
	flat_load_dwordx2 v[14:15], v[4:5]
	;; [unrolled: 1-line block ×3, first 2 shown]
	v_lshl_add_u64 v[10:11], v[0:1], 3, s[4:5]
	flat_load_dwordx2 v[18:19], v[10:11]
	s_waitcnt vmcnt(0) lgkmcnt(0)
	v_pk_mul_f32 v[20:21], s[6:7], v[8:9]
	v_pk_mul_f32 v[22:23], s[6:7], v[12:13]
	;; [unrolled: 1-line block ×3, first 2 shown]
	v_pk_mul_f32 v[12:13], s[6:7], v[12:13] op_sel:[0,1] op_sel_hi:[1,0]
	v_pk_add_f32 v[20:21], v[20:21], v[20:21] op_sel:[0,1] op_sel_hi:[0,1] neg_lo:[0,1] neg_hi:[0,1]
	v_pk_add_f32 v[22:23], v[22:23], v[22:23] op_sel:[0,1] op_sel_hi:[0,1]
	v_pk_add_f32 v[8:9], v[8:9], v[8:9] op_sel:[0,1] op_sel_hi:[0,1]
	v_pk_add_f32 v[12:13], v[12:13], v[12:13] op_sel:[0,1] op_sel_hi:[0,1] neg_lo:[0,1] neg_hi:[0,1]
	v_pk_mul_f32 v[20:21], v[14:15], v[20:21]
	v_pk_mul_f32 v[22:23], v[16:17], v[22:23]
	v_pk_fma_f32 v[24:25], v[14:15], v[8:9], v[20:21] op_sel:[1,0,0] op_sel_hi:[0,1,1]
	v_pk_fma_f32 v[8:9], v[14:15], v[8:9], v[20:21] op_sel:[1,0,0] op_sel_hi:[0,1,1] neg_lo:[0,0,1] neg_hi:[0,0,1]
	v_pk_fma_f32 v[14:15], v[16:17], v[12:13], v[22:23] op_sel:[1,0,0] op_sel_hi:[0,1,1]
	v_pk_fma_f32 v[12:13], v[16:17], v[12:13], v[22:23] op_sel:[1,0,0] op_sel_hi:[0,1,1] neg_lo:[0,0,1] neg_hi:[0,0,1]
	v_mov_b32_e32 v25, v9
	v_mov_b32_e32 v15, v13
	v_pk_add_f32 v[8:9], v[24:25], v[14:15]
	s_nop 0
	v_pk_add_f32 v[8:9], v[18:19], v[8:9]
	flat_store_dwordx2 v[10:11], v[8:9]
.LBB4_15:
	s_or_b64 exec, exec, s[2:3]
	v_add_u32_e32 v3, 64, v3
	s_andn2_b64 vcc, exec, s[26:27]
	v_cmp_gt_i32_e64 s[2:3], s25, v3
	s_cbranch_vccnz .LBB4_17
; %bb.16:
	v_cmp_lt_i32_e32 vcc, v2, v3
	s_and_b64 s[2:3], s[2:3], vcc
	s_xor_b64 s[20:21], s[2:3], -1
	s_and_b64 s[2:3], s[2:3], exec
	s_and_b64 s[20:21], s[20:21], exec
	s_cbranch_execz .LBB4_18
	s_branch .LBB4_19
.LBB4_17:
	s_mov_b64 s[20:21], 0
	s_mov_b64 s[2:3], 0
.LBB4_18:
	v_cmp_ge_i32_e32 vcc, v3, v2
	s_xor_b64 s[0:1], s[0:1], -1
	s_or_b64 s[0:1], s[0:1], vcc
	s_andn2_b64 s[18:19], s[20:21], exec
	s_and_b64 s[0:1], s[0:1], exec
	s_or_b64 s[2:3], s[2:3], exec
	s_or_b64 s[20:21], s[18:19], s[0:1]
.LBB4_19:
	s_and_saveexec_b64 s[18:19], s[20:21]
	s_cbranch_execnz .LBB4_23
; %bb.20:
	s_or_b64 exec, exec, s[18:19]
	s_and_saveexec_b64 s[0:1], s[2:3]
	s_cbranch_execz .LBB4_22
.LBB4_21:
	v_ashrrev_i32_e32 v2, 31, v3
	v_mul_lo_u32 v10, s15, v3
	v_mul_lo_u32 v11, s14, v2
	v_mad_u64_u32 v[8:9], s[0:1], s14, v3, 0
	v_add3_u32 v9, v9, v11, v10
	v_lshl_add_u64 v[8:9], v[8:9], 3, s[12:13]
	v_mul_lo_u32 v10, s9, v3
	v_mul_lo_u32 v11, s8, v2
	v_mad_u64_u32 v[2:3], s[0:1], s8, v3, 0
	flat_load_dwordx2 v[8:9], v[8:9]
	v_add3_u32 v3, v3, v11, v10
	v_lshl_add_u64 v[2:3], v[2:3], 3, s[10:11]
	flat_load_dwordx2 v[10:11], v[2:3]
	flat_load_dwordx2 v[12:13], v[4:5]
	;; [unrolled: 1-line block ×3, first 2 shown]
	v_lshl_add_u64 v[0:1], v[0:1], 3, s[4:5]
	flat_load_dwordx2 v[2:3], v[0:1] offset:512
	s_waitcnt vmcnt(0) lgkmcnt(0)
	v_pk_mul_f32 v[4:5], s[6:7], v[8:9]
	v_pk_mul_f32 v[6:7], s[16:17], v[8:9]
	;; [unrolled: 1-line block ×3, first 2 shown]
	v_pk_mul_f32 v[10:11], s[6:7], v[10:11] op_sel:[0,1] op_sel_hi:[1,0]
	v_pk_add_f32 v[4:5], v[4:5], v[4:5] op_sel:[0,1] op_sel_hi:[0,1] neg_lo:[0,1] neg_hi:[0,1]
	v_pk_add_f32 v[8:9], v[8:9], v[8:9] op_sel:[0,1] op_sel_hi:[0,1]
	v_pk_add_f32 v[6:7], v[6:7], v[6:7] op_sel:[0,1] op_sel_hi:[0,1]
	v_pk_add_f32 v[10:11], v[10:11], v[10:11] op_sel:[0,1] op_sel_hi:[0,1] neg_lo:[0,1] neg_hi:[0,1]
	v_pk_mul_f32 v[4:5], v[12:13], v[4:5]
	v_pk_mul_f32 v[8:9], v[14:15], v[8:9]
	v_pk_fma_f32 v[16:17], v[12:13], v[6:7], v[4:5] op_sel:[1,0,0] op_sel_hi:[0,1,1]
	v_pk_fma_f32 v[4:5], v[12:13], v[6:7], v[4:5] op_sel:[1,0,0] op_sel_hi:[0,1,1] neg_lo:[0,0,1] neg_hi:[0,0,1]
	v_pk_fma_f32 v[6:7], v[14:15], v[10:11], v[8:9] op_sel:[1,0,0] op_sel_hi:[0,1,1]
	v_pk_fma_f32 v[8:9], v[14:15], v[10:11], v[8:9] op_sel:[1,0,0] op_sel_hi:[0,1,1] neg_lo:[0,0,1] neg_hi:[0,0,1]
	v_mov_b32_e32 v17, v5
	v_mov_b32_e32 v7, v9
	v_pk_add_f32 v[4:5], v[16:17], v[6:7]
	s_nop 0
	v_pk_add_f32 v[2:3], v[2:3], v[4:5]
	flat_store_dwordx2 v[0:1], v[2:3] offset:512
.LBB4_22:
	s_endpgm
.LBB4_23:
	v_cmp_eq_u32_e32 vcc, v3, v2
	v_cmp_gt_i32_e64 s[0:1], s25, v3
	s_and_b64 s[20:21], vcc, s[0:1]
	s_and_saveexec_b64 s[0:1], s[20:21]
	s_cbranch_execz .LBB4_25
; %bb.24:
	flat_load_dwordx2 v[8:9], v[4:5]
	flat_load_dwordx2 v[10:11], v[6:7]
	v_lshl_add_u64 v[12:13], v[0:1], 3, s[4:5]
	flat_load_dword v24, v[12:13] offset:512
	s_waitcnt vmcnt(0) lgkmcnt(0)
	v_pk_mul_f32 v[14:15], s[6:7], v[8:9]
	v_pk_mul_f32 v[18:19], s[6:7], v[10:11] op_sel:[0,1]
	v_pk_mul_f32 v[16:17], s[6:7], v[8:9] op_sel:[0,1] op_sel_hi:[1,0]
	v_pk_fma_f32 v[20:21], s[16:17], v[10:11], v[18:19] op_sel_hi:[1,0,1]
	v_pk_fma_f32 v[18:19], s[16:17], v[10:11], v[18:19] op_sel_hi:[1,0,1] neg_lo:[0,0,1] neg_hi:[0,0,1]
	v_pk_add_f32 v[14:15], v[14:15], v[14:15] op_sel:[0,1] op_sel_hi:[0,1]
	v_mov_b32_e32 v23, v19
	v_pk_mov_b32 v[18:19], v[18:19], v[20:21] op_sel:[1,0]
	v_pk_add_f32 v[16:17], v[16:17], v[16:17] op_sel:[0,1] op_sel_hi:[0,1] neg_lo:[0,1] neg_hi:[0,1]
	v_mov_b32_e32 v22, v20
	v_mul_f32_e32 v2, v8, v20
	v_pk_mul_f32 v[14:15], v[10:11], v[14:15]
	v_pk_mul_f32 v[18:19], v[8:9], v[18:19]
	v_pk_fma_f32 v[8:9], v[8:9], v[22:23], v[2:3] op_sel_hi:[1,1,0] neg_lo:[1,0,0] neg_hi:[1,0,0]
	v_pk_fma_f32 v[20:21], v[10:11], v[16:17], v[14:15] op_sel:[1,0,0] op_sel_hi:[0,1,1]
	v_pk_fma_f32 v[10:11], v[10:11], v[16:17], v[14:15] op_sel:[1,0,0] op_sel_hi:[0,1,1] neg_lo:[0,0,1] neg_hi:[0,0,1]
	v_add_f32_e32 v2, v18, v19
	v_add_f32_e32 v8, v24, v2
	v_mov_b32_e32 v21, v11
	v_pk_add_f32 v[8:9], v[8:9], v[20:21]
	flat_store_dwordx2 v[12:13], v[8:9] offset:512
.LBB4_25:
	s_or_b64 exec, exec, s[0:1]
	s_andn2_b64 s[2:3], s[2:3], exec
	s_or_b64 exec, exec, s[18:19]
	s_and_saveexec_b64 s[0:1], s[2:3]
	s_cbranch_execnz .LBB4_21
	s_branch .LBB4_22
	.section	.rodata,"a",@progbits
	.p2align	6, 0x0
	.amdhsa_kernel _ZL19rocblas_hpr2_kernelILi64ELi16ELi2EPK19rocblas_complex_numIfEPKS3_PKPS1_EvbiT2_T3_lllSA_lllT4_lli
		.amdhsa_group_segment_fixed_size 0
		.amdhsa_private_segment_fixed_size 0
		.amdhsa_kernarg_size 108
		.amdhsa_user_sgpr_count 2
		.amdhsa_user_sgpr_dispatch_ptr 0
		.amdhsa_user_sgpr_queue_ptr 0
		.amdhsa_user_sgpr_kernarg_segment_ptr 1
		.amdhsa_user_sgpr_dispatch_id 0
		.amdhsa_user_sgpr_kernarg_preload_length 0
		.amdhsa_user_sgpr_kernarg_preload_offset 0
		.amdhsa_user_sgpr_private_segment_size 0
		.amdhsa_uses_dynamic_stack 0
		.amdhsa_enable_private_segment 0
		.amdhsa_system_sgpr_workgroup_id_x 1
		.amdhsa_system_sgpr_workgroup_id_y 1
		.amdhsa_system_sgpr_workgroup_id_z 1
		.amdhsa_system_sgpr_workgroup_info 0
		.amdhsa_system_vgpr_workitem_id 1
		.amdhsa_next_free_vgpr 26
		.amdhsa_next_free_sgpr 32
		.amdhsa_accum_offset 28
		.amdhsa_reserve_vcc 1
		.amdhsa_float_round_mode_32 0
		.amdhsa_float_round_mode_16_64 0
		.amdhsa_float_denorm_mode_32 3
		.amdhsa_float_denorm_mode_16_64 3
		.amdhsa_dx10_clamp 1
		.amdhsa_ieee_mode 1
		.amdhsa_fp16_overflow 0
		.amdhsa_tg_split 0
		.amdhsa_exception_fp_ieee_invalid_op 0
		.amdhsa_exception_fp_denorm_src 0
		.amdhsa_exception_fp_ieee_div_zero 0
		.amdhsa_exception_fp_ieee_overflow 0
		.amdhsa_exception_fp_ieee_underflow 0
		.amdhsa_exception_fp_ieee_inexact 0
		.amdhsa_exception_int_div_zero 0
	.end_amdhsa_kernel
	.section	.text._ZL19rocblas_hpr2_kernelILi64ELi16ELi2EPK19rocblas_complex_numIfEPKS3_PKPS1_EvbiT2_T3_lllSA_lllT4_lli,"axG",@progbits,_ZL19rocblas_hpr2_kernelILi64ELi16ELi2EPK19rocblas_complex_numIfEPKS3_PKPS1_EvbiT2_T3_lllSA_lllT4_lli,comdat
.Lfunc_end4:
	.size	_ZL19rocblas_hpr2_kernelILi64ELi16ELi2EPK19rocblas_complex_numIfEPKS3_PKPS1_EvbiT2_T3_lllSA_lllT4_lli, .Lfunc_end4-_ZL19rocblas_hpr2_kernelILi64ELi16ELi2EPK19rocblas_complex_numIfEPKS3_PKPS1_EvbiT2_T3_lllSA_lllT4_lli
                                        ; -- End function
	.set _ZL19rocblas_hpr2_kernelILi64ELi16ELi2EPK19rocblas_complex_numIfEPKS3_PKPS1_EvbiT2_T3_lllSA_lllT4_lli.num_vgpr, 26
	.set _ZL19rocblas_hpr2_kernelILi64ELi16ELi2EPK19rocblas_complex_numIfEPKS3_PKPS1_EvbiT2_T3_lllSA_lllT4_lli.num_agpr, 0
	.set _ZL19rocblas_hpr2_kernelILi64ELi16ELi2EPK19rocblas_complex_numIfEPKS3_PKPS1_EvbiT2_T3_lllSA_lllT4_lli.numbered_sgpr, 32
	.set _ZL19rocblas_hpr2_kernelILi64ELi16ELi2EPK19rocblas_complex_numIfEPKS3_PKPS1_EvbiT2_T3_lllSA_lllT4_lli.num_named_barrier, 0
	.set _ZL19rocblas_hpr2_kernelILi64ELi16ELi2EPK19rocblas_complex_numIfEPKS3_PKPS1_EvbiT2_T3_lllSA_lllT4_lli.private_seg_size, 0
	.set _ZL19rocblas_hpr2_kernelILi64ELi16ELi2EPK19rocblas_complex_numIfEPKS3_PKPS1_EvbiT2_T3_lllSA_lllT4_lli.uses_vcc, 1
	.set _ZL19rocblas_hpr2_kernelILi64ELi16ELi2EPK19rocblas_complex_numIfEPKS3_PKPS1_EvbiT2_T3_lllSA_lllT4_lli.uses_flat_scratch, 0
	.set _ZL19rocblas_hpr2_kernelILi64ELi16ELi2EPK19rocblas_complex_numIfEPKS3_PKPS1_EvbiT2_T3_lllSA_lllT4_lli.has_dyn_sized_stack, 0
	.set _ZL19rocblas_hpr2_kernelILi64ELi16ELi2EPK19rocblas_complex_numIfEPKS3_PKPS1_EvbiT2_T3_lllSA_lllT4_lli.has_recursion, 0
	.set _ZL19rocblas_hpr2_kernelILi64ELi16ELi2EPK19rocblas_complex_numIfEPKS3_PKPS1_EvbiT2_T3_lllSA_lllT4_lli.has_indirect_call, 0
	.section	.AMDGPU.csdata,"",@progbits
; Kernel info:
; codeLenInByte = 1752
; TotalNumSgprs: 38
; NumVgprs: 26
; NumAgprs: 0
; TotalNumVgprs: 26
; ScratchSize: 0
; MemoryBound: 0
; FloatMode: 240
; IeeeMode: 1
; LDSByteSize: 0 bytes/workgroup (compile time only)
; SGPRBlocks: 4
; VGPRBlocks: 3
; NumSGPRsForWavesPerEU: 38
; NumVGPRsForWavesPerEU: 26
; AccumOffset: 28
; Occupancy: 8
; WaveLimiterHint : 1
; COMPUTE_PGM_RSRC2:SCRATCH_EN: 0
; COMPUTE_PGM_RSRC2:USER_SGPR: 2
; COMPUTE_PGM_RSRC2:TRAP_HANDLER: 0
; COMPUTE_PGM_RSRC2:TGID_X_EN: 1
; COMPUTE_PGM_RSRC2:TGID_Y_EN: 1
; COMPUTE_PGM_RSRC2:TGID_Z_EN: 1
; COMPUTE_PGM_RSRC2:TIDIG_COMP_CNT: 1
; COMPUTE_PGM_RSRC3_GFX90A:ACCUM_OFFSET: 6
; COMPUTE_PGM_RSRC3_GFX90A:TG_SPLIT: 0
	.section	.text._ZL19rocblas_hpr2_kernelILi64ELi16ELi2E19rocblas_complex_numIfEPKPKS1_PKPS1_EvbiT2_T3_lllSA_lllT4_lli,"axG",@progbits,_ZL19rocblas_hpr2_kernelILi64ELi16ELi2E19rocblas_complex_numIfEPKPKS1_PKPS1_EvbiT2_T3_lllSA_lllT4_lli,comdat
	.globl	_ZL19rocblas_hpr2_kernelILi64ELi16ELi2E19rocblas_complex_numIfEPKPKS1_PKPS1_EvbiT2_T3_lllSA_lllT4_lli ; -- Begin function _ZL19rocblas_hpr2_kernelILi64ELi16ELi2E19rocblas_complex_numIfEPKPKS1_PKPS1_EvbiT2_T3_lllSA_lllT4_lli
	.p2align	8
	.type	_ZL19rocblas_hpr2_kernelILi64ELi16ELi2E19rocblas_complex_numIfEPKPKS1_PKPS1_EvbiT2_T3_lllSA_lllT4_lli,@function
_ZL19rocblas_hpr2_kernelILi64ELi16ELi2E19rocblas_complex_numIfEPKPKS1_PKPS1_EvbiT2_T3_lllSA_lllT4_lli: ; @_ZL19rocblas_hpr2_kernelILi64ELi16ELi2E19rocblas_complex_numIfEPKPKS1_PKPS1_EvbiT2_T3_lllSA_lllT4_lli
; %bb.0:
	s_load_dwordx4 s[8:11], s[0:1], 0x0
	s_mov_b32 s5, 0
	s_waitcnt lgkmcnt(0)
	v_cmp_neq_f32_e64 s[6:7], s10, 0
	v_cmp_neq_f32_e64 s[12:13], s11, 0
	s_or_b64 s[6:7], s[6:7], s[12:13]
	s_andn2_b64 vcc, exec, s[6:7]
	s_cbranch_vccnz .LBB5_22
; %bb.1:
	s_bitcmp1_b32 s8, 0
	s_cselect_b64 s[6:7], -1, 0
	s_xor_b64 s[26:27], s[6:7], -1
	s_load_dwordx4 s[20:23], s[0:1], 0x10
	s_load_dwordx2 s[24:25], s[0:1], 0x20
	s_load_dwordx4 s[16:19], s[0:1], 0x30
	s_load_dwordx2 s[6:7], s[0:1], 0x40
	s_load_dwordx4 s[12:15], s[0:1], 0x50
	s_lshl_b64 s[30:31], s[4:5], 3
	s_waitcnt lgkmcnt(0)
	s_add_u32 s0, s20, s30
	s_addc_u32 s1, s21, s31
	s_add_u32 s4, s16, s30
	s_addc_u32 s5, s17, s31
	;; [unrolled: 2-line block ×3, first 2 shown]
	s_load_dwordx2 s[0:1], s[0:1], 0x0
	v_and_b32_e32 v1, 0x3ff, v0
	s_load_dwordx2 s[4:5], s[4:5], 0x0
	v_bfe_u32 v0, v0, 10, 10
	s_load_dwordx2 s[20:21], s[12:13], 0x0
	s_mov_b64 s[28:29], -1
	v_lshl_add_u32 v3, s2, 7, v1
	v_lshl_add_u32 v2, s3, 4, v0
	s_and_b64 vcc, exec, s[26:27]
                                        ; implicit-def: $vgpr0
	s_cbranch_vccz .LBB5_3
; %bb.2:
	s_lshl_b32 s2, s9, 1
	v_sub_u32_e32 v0, s2, v2
	v_mad_u64_u32 v[0:1], s[2:3], v2, v0, v[2:3]
	v_lshrrev_b32_e32 v1, 31, v0
	v_add_u32_e32 v0, v0, v1
	v_ashrrev_i32_e32 v0, 1, v0
	v_sub_u32_e32 v1, v3, v2
	v_add_u32_e32 v0, v1, v0
	s_mov_b64 s[28:29], 0
.LBB5_3:
	s_andn2_b64 vcc, exec, s[28:29]
	s_cbranch_vccnz .LBB5_5
; %bb.4:
	v_mad_u64_u32 v[0:1], s[2:3], v2, v2, v[2:3]
	v_lshrrev_b32_e32 v1, 31, v0
	v_add_u32_e32 v0, v0, v1
	v_ashrrev_i32_e32 v0, 1, v0
	v_add_u32_e32 v0, v0, v3
.LBB5_5:
	s_lshl_b64 s[2:3], s[22:23], 3
	s_waitcnt lgkmcnt(0)
	s_add_u32 s16, s0, s2
	s_addc_u32 s17, s1, s3
	s_lshl_b64 s[0:1], s[18:19], 3
	s_add_u32 s12, s4, s0
	v_ashrrev_i32_e32 v1, 31, v2
	s_addc_u32 s13, s5, s1
	s_lshl_b64 s[0:1], s[14:15], 3
	v_mul_lo_u32 v6, s7, v2
	v_mul_lo_u32 v7, s6, v1
	v_mad_u64_u32 v[4:5], s[2:3], s6, v2, 0
	s_add_u32 s4, s20, s0
	v_add3_u32 v5, v5, v7, v6
	v_mul_lo_u32 v8, s25, v2
	v_mul_lo_u32 v1, s24, v1
	v_mad_u64_u32 v[6:7], s[2:3], s24, v2, 0
	s_addc_u32 s5, s21, s1
	v_cmp_gt_i32_e64 s[0:1], s9, v2
	v_add3_u32 v7, v7, v1, v8
	s_and_b64 vcc, exec, s[26:27]
	s_cbranch_vccz .LBB5_7
; %bb.6:
	v_cmp_le_i32_e32 vcc, s9, v3
	v_cmp_le_i32_e64 s[2:3], v3, v2
	s_or_b64 s[2:3], s[2:3], vcc
	s_mov_b64 s[18:19], -1
	s_and_b64 s[2:3], s[2:3], exec
	s_cbranch_execz .LBB5_8
	s_branch .LBB5_9
.LBB5_7:
	s_mov_b64 s[2:3], 0
	s_mov_b64 s[18:19], 0
.LBB5_8:
	v_cmp_lt_i32_e32 vcc, v3, v2
	s_and_b64 s[14:15], vcc, s[0:1]
	s_xor_b64 s[20:21], s[14:15], -1
	s_andn2_b64 s[18:19], s[18:19], exec
	s_and_b64 s[14:15], s[14:15], exec
	s_or_b64 s[18:19], s[18:19], s[14:15]
	s_andn2_b64 s[2:3], s[2:3], exec
	s_and_b64 s[14:15], s[20:21], exec
	s_or_b64 s[2:3], s[2:3], s[14:15]
.LBB5_9:
	s_mov_b32 s14, s11
	s_mov_b32 s15, s10
	v_lshl_add_u64 v[4:5], v[4:5], 3, s[12:13]
	v_lshl_add_u64 v[6:7], v[6:7], 3, s[16:17]
	s_and_saveexec_b64 s[20:21], s[2:3]
	s_xor_b64 s[20:21], exec, s[20:21]
	s_cbranch_execz .LBB5_13
; %bb.10:
	v_cmp_eq_u32_e32 vcc, v3, v2
	v_cmp_gt_i32_e64 s[2:3], s9, v3
	s_and_b64 s[22:23], vcc, s[2:3]
	s_and_saveexec_b64 s[2:3], s[22:23]
	s_cbranch_execz .LBB5_12
; %bb.11:
	v_ashrrev_i32_e32 v1, 31, v3
	v_mul_lo_u32 v10, s25, v3
	v_mul_lo_u32 v11, s24, v1
	v_mad_u64_u32 v[8:9], s[22:23], s24, v3, 0
	v_add3_u32 v9, v9, v11, v10
	v_lshl_add_u64 v[8:9], v[8:9], 3, s[16:17]
	flat_load_dwordx2 v[8:9], v[8:9]
	v_mul_lo_u32 v12, s7, v3
	v_mul_lo_u32 v1, s6, v1
	v_mad_u64_u32 v[10:11], s[22:23], s6, v3, 0
	v_add3_u32 v11, v11, v1, v12
	v_lshl_add_u64 v[10:11], v[10:11], 3, s[12:13]
	flat_load_dwordx2 v[12:13], v[10:11]
	flat_load_dwordx2 v[14:15], v[4:5]
	;; [unrolled: 1-line block ×3, first 2 shown]
	v_ashrrev_i32_e32 v1, 31, v0
	v_lshl_add_u64 v[10:11], v[0:1], 3, s[4:5]
	flat_load_dword v1, v[10:11]
	s_waitcnt vmcnt(0) lgkmcnt(0)
	v_pk_mul_f32 v[18:19], s[10:11], v[8:9] op_sel:[0,1]
	s_nop 0
	v_pk_fma_f32 v[22:23], s[14:15], v[8:9], v[18:19] op_sel_hi:[1,0,1]
	v_pk_fma_f32 v[8:9], s[14:15], v[8:9], v[18:19] op_sel_hi:[1,0,1] neg_lo:[0,0,1] neg_hi:[0,0,1]
	v_pk_mul_f32 v[20:21], s[10:11], v[12:13]
	v_pk_mul_f32 v[12:13], s[10:11], v[12:13] op_sel:[0,1] op_sel_hi:[1,0]
	v_pk_add_f32 v[18:19], v[20:21], v[20:21] op_sel:[0,1] op_sel_hi:[0,1]
	v_mov_b32_e32 v21, v9
	v_pk_mov_b32 v[8:9], v[8:9], v[22:23] op_sel:[1,0]
	v_pk_add_f32 v[12:13], v[12:13], v[12:13] op_sel:[0,1] op_sel_hi:[0,1] neg_lo:[0,1] neg_hi:[0,1]
	v_mov_b32_e32 v20, v22
	v_mul_f32_e32 v22, v14, v22
	v_pk_mul_f32 v[18:19], v[16:17], v[18:19]
	v_pk_mul_f32 v[8:9], v[14:15], v[8:9]
	v_pk_fma_f32 v[14:15], v[14:15], v[20:21], v[22:23] op_sel_hi:[1,1,0] neg_lo:[1,0,0] neg_hi:[1,0,0]
	v_pk_fma_f32 v[20:21], v[16:17], v[12:13], v[18:19] op_sel:[1,0,0] op_sel_hi:[0,1,1]
	v_pk_fma_f32 v[12:13], v[16:17], v[12:13], v[18:19] op_sel:[1,0,0] op_sel_hi:[0,1,1] neg_lo:[0,0,1] neg_hi:[0,0,1]
	v_add_f32_e32 v8, v8, v9
	v_add_f32_e32 v14, v1, v8
	v_mov_b32_e32 v21, v13
	v_pk_add_f32 v[8:9], v[14:15], v[20:21]
	flat_store_dwordx2 v[10:11], v[8:9]
.LBB5_12:
	s_or_b64 exec, exec, s[2:3]
	s_andn2_b64 s[18:19], s[18:19], exec
.LBB5_13:
	s_or_b64 exec, exec, s[20:21]
	v_ashrrev_i32_e32 v1, 31, v0
	s_and_saveexec_b64 s[2:3], s[18:19]
	s_cbranch_execz .LBB5_15
; %bb.14:
	v_ashrrev_i32_e32 v10, 31, v3
	v_mul_lo_u32 v11, s25, v3
	v_mul_lo_u32 v12, s24, v10
	v_mad_u64_u32 v[8:9], s[18:19], s24, v3, 0
	v_add3_u32 v9, v9, v12, v11
	v_lshl_add_u64 v[8:9], v[8:9], 3, s[16:17]
	v_mul_lo_u32 v12, s7, v3
	v_mul_lo_u32 v13, s6, v10
	v_mad_u64_u32 v[10:11], s[18:19], s6, v3, 0
	flat_load_dwordx2 v[8:9], v[8:9]
	v_add3_u32 v11, v11, v13, v12
	v_lshl_add_u64 v[10:11], v[10:11], 3, s[12:13]
	flat_load_dwordx2 v[12:13], v[10:11]
	flat_load_dwordx2 v[14:15], v[4:5]
	;; [unrolled: 1-line block ×3, first 2 shown]
	v_lshl_add_u64 v[10:11], v[0:1], 3, s[4:5]
	flat_load_dwordx2 v[18:19], v[10:11]
	s_waitcnt vmcnt(0) lgkmcnt(0)
	v_pk_mul_f32 v[20:21], s[10:11], v[8:9]
	v_pk_mul_f32 v[22:23], s[10:11], v[12:13]
	;; [unrolled: 1-line block ×3, first 2 shown]
	v_pk_mul_f32 v[12:13], s[10:11], v[12:13] op_sel:[0,1] op_sel_hi:[1,0]
	v_pk_add_f32 v[20:21], v[20:21], v[20:21] op_sel:[0,1] op_sel_hi:[0,1] neg_lo:[0,1] neg_hi:[0,1]
	v_pk_add_f32 v[22:23], v[22:23], v[22:23] op_sel:[0,1] op_sel_hi:[0,1]
	v_pk_add_f32 v[8:9], v[8:9], v[8:9] op_sel:[0,1] op_sel_hi:[0,1]
	v_pk_add_f32 v[12:13], v[12:13], v[12:13] op_sel:[0,1] op_sel_hi:[0,1] neg_lo:[0,1] neg_hi:[0,1]
	v_pk_mul_f32 v[20:21], v[14:15], v[20:21]
	v_pk_mul_f32 v[22:23], v[16:17], v[22:23]
	v_pk_fma_f32 v[24:25], v[14:15], v[8:9], v[20:21] op_sel:[1,0,0] op_sel_hi:[0,1,1]
	v_pk_fma_f32 v[8:9], v[14:15], v[8:9], v[20:21] op_sel:[1,0,0] op_sel_hi:[0,1,1] neg_lo:[0,0,1] neg_hi:[0,0,1]
	v_pk_fma_f32 v[14:15], v[16:17], v[12:13], v[22:23] op_sel:[1,0,0] op_sel_hi:[0,1,1]
	v_pk_fma_f32 v[12:13], v[16:17], v[12:13], v[22:23] op_sel:[1,0,0] op_sel_hi:[0,1,1] neg_lo:[0,0,1] neg_hi:[0,0,1]
	v_mov_b32_e32 v25, v9
	v_mov_b32_e32 v15, v13
	v_pk_add_f32 v[8:9], v[24:25], v[14:15]
	s_nop 0
	v_pk_add_f32 v[8:9], v[18:19], v[8:9]
	flat_store_dwordx2 v[10:11], v[8:9]
.LBB5_15:
	s_or_b64 exec, exec, s[2:3]
	v_add_u32_e32 v3, 64, v3
	s_andn2_b64 vcc, exec, s[26:27]
	v_cmp_gt_i32_e64 s[2:3], s9, v3
	s_cbranch_vccnz .LBB5_17
; %bb.16:
	v_cmp_lt_i32_e32 vcc, v2, v3
	s_and_b64 s[2:3], s[2:3], vcc
	s_xor_b64 s[20:21], s[2:3], -1
	s_and_b64 s[2:3], s[2:3], exec
	s_and_b64 s[20:21], s[20:21], exec
	s_cbranch_execz .LBB5_18
	s_branch .LBB5_19
.LBB5_17:
	s_mov_b64 s[20:21], 0
	s_mov_b64 s[2:3], 0
.LBB5_18:
	v_cmp_ge_i32_e32 vcc, v3, v2
	s_xor_b64 s[0:1], s[0:1], -1
	s_or_b64 s[0:1], s[0:1], vcc
	s_andn2_b64 s[18:19], s[20:21], exec
	s_and_b64 s[0:1], s[0:1], exec
	s_or_b64 s[2:3], s[2:3], exec
	s_or_b64 s[20:21], s[18:19], s[0:1]
.LBB5_19:
	s_and_saveexec_b64 s[18:19], s[20:21]
	s_cbranch_execnz .LBB5_23
; %bb.20:
	s_or_b64 exec, exec, s[18:19]
	s_and_saveexec_b64 s[0:1], s[2:3]
	s_cbranch_execz .LBB5_22
.LBB5_21:
	v_ashrrev_i32_e32 v2, 31, v3
	v_mul_lo_u32 v10, s25, v3
	v_mul_lo_u32 v11, s24, v2
	v_mad_u64_u32 v[8:9], s[0:1], s24, v3, 0
	v_add3_u32 v9, v9, v11, v10
	v_lshl_add_u64 v[8:9], v[8:9], 3, s[16:17]
	v_mul_lo_u32 v10, s7, v3
	v_mul_lo_u32 v11, s6, v2
	v_mad_u64_u32 v[2:3], s[0:1], s6, v3, 0
	flat_load_dwordx2 v[8:9], v[8:9]
	v_add3_u32 v3, v3, v11, v10
	v_lshl_add_u64 v[2:3], v[2:3], 3, s[12:13]
	flat_load_dwordx2 v[10:11], v[2:3]
	flat_load_dwordx2 v[12:13], v[4:5]
	;; [unrolled: 1-line block ×3, first 2 shown]
	v_lshl_add_u64 v[0:1], v[0:1], 3, s[4:5]
	flat_load_dwordx2 v[2:3], v[0:1] offset:512
	s_waitcnt vmcnt(0) lgkmcnt(0)
	v_pk_mul_f32 v[4:5], s[10:11], v[8:9]
	v_pk_mul_f32 v[6:7], s[14:15], v[8:9]
	;; [unrolled: 1-line block ×3, first 2 shown]
	v_pk_mul_f32 v[10:11], s[10:11], v[10:11] op_sel:[0,1] op_sel_hi:[1,0]
	v_pk_add_f32 v[4:5], v[4:5], v[4:5] op_sel:[0,1] op_sel_hi:[0,1] neg_lo:[0,1] neg_hi:[0,1]
	v_pk_add_f32 v[8:9], v[8:9], v[8:9] op_sel:[0,1] op_sel_hi:[0,1]
	v_pk_add_f32 v[6:7], v[6:7], v[6:7] op_sel:[0,1] op_sel_hi:[0,1]
	v_pk_add_f32 v[10:11], v[10:11], v[10:11] op_sel:[0,1] op_sel_hi:[0,1] neg_lo:[0,1] neg_hi:[0,1]
	v_pk_mul_f32 v[4:5], v[12:13], v[4:5]
	v_pk_mul_f32 v[8:9], v[14:15], v[8:9]
	v_pk_fma_f32 v[16:17], v[12:13], v[6:7], v[4:5] op_sel:[1,0,0] op_sel_hi:[0,1,1]
	v_pk_fma_f32 v[4:5], v[12:13], v[6:7], v[4:5] op_sel:[1,0,0] op_sel_hi:[0,1,1] neg_lo:[0,0,1] neg_hi:[0,0,1]
	v_pk_fma_f32 v[6:7], v[14:15], v[10:11], v[8:9] op_sel:[1,0,0] op_sel_hi:[0,1,1]
	v_pk_fma_f32 v[8:9], v[14:15], v[10:11], v[8:9] op_sel:[1,0,0] op_sel_hi:[0,1,1] neg_lo:[0,0,1] neg_hi:[0,0,1]
	v_mov_b32_e32 v17, v5
	v_mov_b32_e32 v7, v9
	v_pk_add_f32 v[4:5], v[16:17], v[6:7]
	s_nop 0
	v_pk_add_f32 v[2:3], v[2:3], v[4:5]
	flat_store_dwordx2 v[0:1], v[2:3] offset:512
.LBB5_22:
	s_endpgm
.LBB5_23:
	v_cmp_eq_u32_e32 vcc, v3, v2
	v_cmp_gt_i32_e64 s[0:1], s9, v3
	s_and_b64 s[8:9], vcc, s[0:1]
	s_and_saveexec_b64 s[0:1], s[8:9]
	s_cbranch_execz .LBB5_25
; %bb.24:
	flat_load_dwordx2 v[8:9], v[4:5]
	flat_load_dwordx2 v[10:11], v[6:7]
	v_lshl_add_u64 v[12:13], v[0:1], 3, s[4:5]
	flat_load_dword v24, v[12:13] offset:512
	s_waitcnt vmcnt(0) lgkmcnt(0)
	v_pk_mul_f32 v[14:15], s[10:11], v[8:9]
	v_pk_mul_f32 v[18:19], s[10:11], v[10:11] op_sel:[0,1]
	v_pk_mul_f32 v[16:17], s[10:11], v[8:9] op_sel:[0,1] op_sel_hi:[1,0]
	v_pk_fma_f32 v[20:21], s[14:15], v[10:11], v[18:19] op_sel_hi:[1,0,1]
	v_pk_fma_f32 v[18:19], s[14:15], v[10:11], v[18:19] op_sel_hi:[1,0,1] neg_lo:[0,0,1] neg_hi:[0,0,1]
	v_pk_add_f32 v[14:15], v[14:15], v[14:15] op_sel:[0,1] op_sel_hi:[0,1]
	v_mov_b32_e32 v23, v19
	v_pk_mov_b32 v[18:19], v[18:19], v[20:21] op_sel:[1,0]
	v_pk_add_f32 v[16:17], v[16:17], v[16:17] op_sel:[0,1] op_sel_hi:[0,1] neg_lo:[0,1] neg_hi:[0,1]
	v_mov_b32_e32 v22, v20
	v_mul_f32_e32 v2, v8, v20
	v_pk_mul_f32 v[14:15], v[10:11], v[14:15]
	v_pk_mul_f32 v[18:19], v[8:9], v[18:19]
	v_pk_fma_f32 v[8:9], v[8:9], v[22:23], v[2:3] op_sel_hi:[1,1,0] neg_lo:[1,0,0] neg_hi:[1,0,0]
	v_pk_fma_f32 v[20:21], v[10:11], v[16:17], v[14:15] op_sel:[1,0,0] op_sel_hi:[0,1,1]
	v_pk_fma_f32 v[10:11], v[10:11], v[16:17], v[14:15] op_sel:[1,0,0] op_sel_hi:[0,1,1] neg_lo:[0,0,1] neg_hi:[0,0,1]
	v_add_f32_e32 v2, v18, v19
	v_add_f32_e32 v8, v24, v2
	v_mov_b32_e32 v21, v11
	v_pk_add_f32 v[8:9], v[8:9], v[20:21]
	flat_store_dwordx2 v[12:13], v[8:9] offset:512
.LBB5_25:
	s_or_b64 exec, exec, s[0:1]
	s_andn2_b64 s[2:3], s[2:3], exec
	s_or_b64 exec, exec, s[18:19]
	s_and_saveexec_b64 s[0:1], s[2:3]
	s_cbranch_execnz .LBB5_21
	s_branch .LBB5_22
	.section	.rodata,"a",@progbits
	.p2align	6, 0x0
	.amdhsa_kernel _ZL19rocblas_hpr2_kernelILi64ELi16ELi2E19rocblas_complex_numIfEPKPKS1_PKPS1_EvbiT2_T3_lllSA_lllT4_lli
		.amdhsa_group_segment_fixed_size 0
		.amdhsa_private_segment_fixed_size 0
		.amdhsa_kernarg_size 108
		.amdhsa_user_sgpr_count 2
		.amdhsa_user_sgpr_dispatch_ptr 0
		.amdhsa_user_sgpr_queue_ptr 0
		.amdhsa_user_sgpr_kernarg_segment_ptr 1
		.amdhsa_user_sgpr_dispatch_id 0
		.amdhsa_user_sgpr_kernarg_preload_length 0
		.amdhsa_user_sgpr_kernarg_preload_offset 0
		.amdhsa_user_sgpr_private_segment_size 0
		.amdhsa_uses_dynamic_stack 0
		.amdhsa_enable_private_segment 0
		.amdhsa_system_sgpr_workgroup_id_x 1
		.amdhsa_system_sgpr_workgroup_id_y 1
		.amdhsa_system_sgpr_workgroup_id_z 1
		.amdhsa_system_sgpr_workgroup_info 0
		.amdhsa_system_vgpr_workitem_id 1
		.amdhsa_next_free_vgpr 26
		.amdhsa_next_free_sgpr 32
		.amdhsa_accum_offset 28
		.amdhsa_reserve_vcc 1
		.amdhsa_float_round_mode_32 0
		.amdhsa_float_round_mode_16_64 0
		.amdhsa_float_denorm_mode_32 3
		.amdhsa_float_denorm_mode_16_64 3
		.amdhsa_dx10_clamp 1
		.amdhsa_ieee_mode 1
		.amdhsa_fp16_overflow 0
		.amdhsa_tg_split 0
		.amdhsa_exception_fp_ieee_invalid_op 0
		.amdhsa_exception_fp_denorm_src 0
		.amdhsa_exception_fp_ieee_div_zero 0
		.amdhsa_exception_fp_ieee_overflow 0
		.amdhsa_exception_fp_ieee_underflow 0
		.amdhsa_exception_fp_ieee_inexact 0
		.amdhsa_exception_int_div_zero 0
	.end_amdhsa_kernel
	.section	.text._ZL19rocblas_hpr2_kernelILi64ELi16ELi2E19rocblas_complex_numIfEPKPKS1_PKPS1_EvbiT2_T3_lllSA_lllT4_lli,"axG",@progbits,_ZL19rocblas_hpr2_kernelILi64ELi16ELi2E19rocblas_complex_numIfEPKPKS1_PKPS1_EvbiT2_T3_lllSA_lllT4_lli,comdat
.Lfunc_end5:
	.size	_ZL19rocblas_hpr2_kernelILi64ELi16ELi2E19rocblas_complex_numIfEPKPKS1_PKPS1_EvbiT2_T3_lllSA_lllT4_lli, .Lfunc_end5-_ZL19rocblas_hpr2_kernelILi64ELi16ELi2E19rocblas_complex_numIfEPKPKS1_PKPS1_EvbiT2_T3_lllSA_lllT4_lli
                                        ; -- End function
	.set _ZL19rocblas_hpr2_kernelILi64ELi16ELi2E19rocblas_complex_numIfEPKPKS1_PKPS1_EvbiT2_T3_lllSA_lllT4_lli.num_vgpr, 26
	.set _ZL19rocblas_hpr2_kernelILi64ELi16ELi2E19rocblas_complex_numIfEPKPKS1_PKPS1_EvbiT2_T3_lllSA_lllT4_lli.num_agpr, 0
	.set _ZL19rocblas_hpr2_kernelILi64ELi16ELi2E19rocblas_complex_numIfEPKPKS1_PKPS1_EvbiT2_T3_lllSA_lllT4_lli.numbered_sgpr, 32
	.set _ZL19rocblas_hpr2_kernelILi64ELi16ELi2E19rocblas_complex_numIfEPKPKS1_PKPS1_EvbiT2_T3_lllSA_lllT4_lli.num_named_barrier, 0
	.set _ZL19rocblas_hpr2_kernelILi64ELi16ELi2E19rocblas_complex_numIfEPKPKS1_PKPS1_EvbiT2_T3_lllSA_lllT4_lli.private_seg_size, 0
	.set _ZL19rocblas_hpr2_kernelILi64ELi16ELi2E19rocblas_complex_numIfEPKPKS1_PKPS1_EvbiT2_T3_lllSA_lllT4_lli.uses_vcc, 1
	.set _ZL19rocblas_hpr2_kernelILi64ELi16ELi2E19rocblas_complex_numIfEPKPKS1_PKPS1_EvbiT2_T3_lllSA_lllT4_lli.uses_flat_scratch, 0
	.set _ZL19rocblas_hpr2_kernelILi64ELi16ELi2E19rocblas_complex_numIfEPKPKS1_PKPS1_EvbiT2_T3_lllSA_lllT4_lli.has_dyn_sized_stack, 0
	.set _ZL19rocblas_hpr2_kernelILi64ELi16ELi2E19rocblas_complex_numIfEPKPKS1_PKPS1_EvbiT2_T3_lllSA_lllT4_lli.has_recursion, 0
	.set _ZL19rocblas_hpr2_kernelILi64ELi16ELi2E19rocblas_complex_numIfEPKPKS1_PKPS1_EvbiT2_T3_lllSA_lllT4_lli.has_indirect_call, 0
	.section	.AMDGPU.csdata,"",@progbits
; Kernel info:
; codeLenInByte = 1748
; TotalNumSgprs: 38
; NumVgprs: 26
; NumAgprs: 0
; TotalNumVgprs: 26
; ScratchSize: 0
; MemoryBound: 0
; FloatMode: 240
; IeeeMode: 1
; LDSByteSize: 0 bytes/workgroup (compile time only)
; SGPRBlocks: 4
; VGPRBlocks: 3
; NumSGPRsForWavesPerEU: 38
; NumVGPRsForWavesPerEU: 26
; AccumOffset: 28
; Occupancy: 8
; WaveLimiterHint : 1
; COMPUTE_PGM_RSRC2:SCRATCH_EN: 0
; COMPUTE_PGM_RSRC2:USER_SGPR: 2
; COMPUTE_PGM_RSRC2:TRAP_HANDLER: 0
; COMPUTE_PGM_RSRC2:TGID_X_EN: 1
; COMPUTE_PGM_RSRC2:TGID_Y_EN: 1
; COMPUTE_PGM_RSRC2:TGID_Z_EN: 1
; COMPUTE_PGM_RSRC2:TIDIG_COMP_CNT: 1
; COMPUTE_PGM_RSRC3_GFX90A:ACCUM_OFFSET: 6
; COMPUTE_PGM_RSRC3_GFX90A:TG_SPLIT: 0
	.section	.text._ZL19rocblas_hpr2_kernelILi64ELi16ELi2EPK19rocblas_complex_numIdEPKS3_PKPS1_EvbiT2_T3_lllSA_lllT4_lli,"axG",@progbits,_ZL19rocblas_hpr2_kernelILi64ELi16ELi2EPK19rocblas_complex_numIdEPKS3_PKPS1_EvbiT2_T3_lllSA_lllT4_lli,comdat
	.globl	_ZL19rocblas_hpr2_kernelILi64ELi16ELi2EPK19rocblas_complex_numIdEPKS3_PKPS1_EvbiT2_T3_lllSA_lllT4_lli ; -- Begin function _ZL19rocblas_hpr2_kernelILi64ELi16ELi2EPK19rocblas_complex_numIdEPKS3_PKPS1_EvbiT2_T3_lllSA_lllT4_lli
	.p2align	8
	.type	_ZL19rocblas_hpr2_kernelILi64ELi16ELi2EPK19rocblas_complex_numIdEPKS3_PKPS1_EvbiT2_T3_lllSA_lllT4_lli,@function
_ZL19rocblas_hpr2_kernelILi64ELi16ELi2EPK19rocblas_complex_numIdEPKS3_PKPS1_EvbiT2_T3_lllSA_lllT4_lli: ; @_ZL19rocblas_hpr2_kernelILi64ELi16ELi2EPK19rocblas_complex_numIdEPKS3_PKPS1_EvbiT2_T3_lllSA_lllT4_lli
; %bb.0:
	s_load_dwordx8 s[8:15], s[0:1], 0x8
	s_waitcnt lgkmcnt(0)
	s_load_dwordx4 s[16:19], s[8:9], 0x0
	s_waitcnt lgkmcnt(0)
	v_cmp_neq_f64_e64 s[6:7], s[16:17], 0
	v_cmp_neq_f64_e64 s[8:9], s[18:19], 0
	s_or_b64 s[6:7], s[6:7], s[8:9]
	s_andn2_b64 vcc, exec, s[6:7]
	s_cbranch_vccnz .LBB6_22
; %bb.1:
	s_load_dwordx2 s[28:29], s[0:1], 0x0
	s_load_dwordx4 s[20:23], s[0:1], 0x30
	s_load_dwordx2 s[6:7], s[0:1], 0x40
	s_load_dwordx4 s[24:27], s[0:1], 0x50
	s_mov_b32 s5, 0
	v_and_b32_e32 v1, 0x3ff, v0
	s_waitcnt lgkmcnt(0)
	s_bitcmp1_b32 s28, 0
	s_cselect_b64 s[0:1], -1, 0
	s_xor_b64 s[30:31], s[0:1], -1
	s_lshl_b64 s[34:35], s[4:5], 3
	s_add_u32 s0, s10, s34
	s_addc_u32 s1, s11, s35
	s_add_u32 s4, s20, s34
	s_addc_u32 s5, s21, s35
	;; [unrolled: 2-line block ×3, first 2 shown]
	s_load_dwordx2 s[0:1], s[0:1], 0x0
	v_bfe_u32 v0, v0, 10, 10
	s_load_dwordx2 s[4:5], s[4:5], 0x0
	s_mov_b64 s[8:9], -1
	s_load_dwordx2 s[20:21], s[10:11], 0x0
	v_lshl_add_u32 v7, s2, 7, v1
	v_lshl_add_u32 v6, s3, 4, v0
	s_and_b64 vcc, exec, s[30:31]
                                        ; implicit-def: $vgpr0
	s_cbranch_vccz .LBB6_3
; %bb.2:
	s_lshl_b32 s2, s29, 1
	v_sub_u32_e32 v0, s2, v6
	v_mad_u64_u32 v[0:1], s[2:3], v6, v0, v[6:7]
	v_lshrrev_b32_e32 v1, 31, v0
	v_add_u32_e32 v0, v0, v1
	v_ashrrev_i32_e32 v0, 1, v0
	v_sub_u32_e32 v1, v7, v6
	v_add_u32_e32 v0, v1, v0
	s_mov_b64 s[8:9], 0
.LBB6_3:
	s_andn2_b64 vcc, exec, s[8:9]
	s_cbranch_vccnz .LBB6_5
; %bb.4:
	v_mad_u64_u32 v[0:1], s[2:3], v6, v6, v[6:7]
	v_lshrrev_b32_e32 v1, 31, v0
	v_add_u32_e32 v0, v0, v1
	v_ashrrev_i32_e32 v0, 1, v0
	v_add_u32_e32 v0, v0, v7
.LBB6_5:
	s_lshl_b64 s[2:3], s[12:13], 4
	s_waitcnt lgkmcnt(0)
	s_add_u32 s10, s0, s2
	s_addc_u32 s11, s1, s3
	s_lshl_b64 s[0:1], s[22:23], 4
	s_add_u32 s8, s4, s0
	v_ashrrev_i32_e32 v1, 31, v6
	s_addc_u32 s9, s5, s1
	s_lshl_b64 s[0:1], s[26:27], 4
	v_mul_lo_u32 v4, s7, v6
	v_mul_lo_u32 v5, s6, v1
	v_mad_u64_u32 v[2:3], s[2:3], s6, v6, 0
	s_add_u32 s4, s20, s0
	v_add3_u32 v3, v3, v5, v4
	v_mul_lo_u32 v8, s15, v6
	v_mul_lo_u32 v1, s14, v1
	v_mad_u64_u32 v[4:5], s[2:3], s14, v6, 0
	s_addc_u32 s5, s21, s1
	v_cmp_gt_i32_e64 s[0:1], s29, v6
	v_add3_u32 v5, v5, v1, v8
	s_and_b64 vcc, exec, s[30:31]
	s_cbranch_vccz .LBB6_7
; %bb.6:
	v_cmp_le_i32_e32 vcc, s29, v7
	v_cmp_le_i32_e64 s[2:3], v7, v6
	s_or_b64 s[2:3], s[2:3], vcc
	s_mov_b64 s[12:13], -1
	s_and_b64 s[2:3], s[2:3], exec
	s_cbranch_execz .LBB6_8
	s_branch .LBB6_9
.LBB6_7:
	s_mov_b64 s[2:3], 0
	s_mov_b64 s[12:13], 0
.LBB6_8:
	v_cmp_lt_i32_e32 vcc, v7, v6
	s_and_b64 s[20:21], vcc, s[0:1]
	s_xor_b64 s[22:23], s[20:21], -1
	s_andn2_b64 s[12:13], s[12:13], exec
	s_and_b64 s[20:21], s[20:21], exec
	s_or_b64 s[12:13], s[12:13], s[20:21]
	s_andn2_b64 s[2:3], s[2:3], exec
	s_and_b64 s[20:21], s[22:23], exec
	s_or_b64 s[2:3], s[2:3], s[20:21]
.LBB6_9:
	v_lshl_add_u64 v[2:3], v[2:3], 4, s[8:9]
	v_lshl_add_u64 v[4:5], v[4:5], 4, s[10:11]
	s_and_saveexec_b64 s[20:21], s[2:3]
	s_xor_b64 s[20:21], exec, s[20:21]
	s_cbranch_execz .LBB6_13
; %bb.10:
	v_cmp_eq_u32_e32 vcc, v7, v6
	v_cmp_gt_i32_e64 s[2:3], s29, v7
	s_and_b64 s[22:23], vcc, s[2:3]
	s_and_saveexec_b64 s[2:3], s[22:23]
	s_cbranch_execz .LBB6_12
; %bb.11:
	v_ashrrev_i32_e32 v1, 31, v7
	v_mul_lo_u32 v10, s15, v7
	v_mul_lo_u32 v11, s14, v1
	v_mad_u64_u32 v[8:9], s[22:23], s14, v7, 0
	v_add3_u32 v9, v9, v11, v10
	v_lshl_add_u64 v[8:9], v[8:9], 4, s[10:11]
	flat_load_dwordx4 v[8:11], v[8:9]
	v_mul_lo_u32 v14, s7, v7
	v_mul_lo_u32 v1, s6, v1
	v_mad_u64_u32 v[12:13], s[22:23], s6, v7, 0
	v_add3_u32 v13, v13, v1, v14
	v_lshl_add_u64 v[24:25], v[12:13], 4, s[8:9]
	v_ashrrev_i32_e32 v1, 31, v0
	flat_load_dwordx4 v[12:15], v[24:25]
	flat_load_dwordx4 v[16:19], v[2:3]
	flat_load_dwordx4 v[20:23], v[4:5]
	v_lshl_add_u64 v[24:25], v[0:1], 4, s[4:5]
	flat_load_dwordx2 v[26:27], v[24:25]
	s_waitcnt vmcnt(0) lgkmcnt(0)
	v_mul_f64 v[28:29], s[18:19], v[10:11]
	v_mul_f64 v[10:11], s[16:17], v[10:11]
	v_fmac_f64_e32 v[10:11], s[18:19], v[8:9]
	v_fma_f64 v[28:29], s[16:17], v[8:9], -v[28:29]
	v_mul_f64 v[30:31], s[18:19], v[14:15]
	v_mul_f64 v[32:33], s[18:19], v[12:13]
	v_fmac_f64_e32 v[30:31], s[16:17], v[12:13]
	v_fma_f64 v[8:9], s[16:17], v[14:15], -v[32:33]
	v_mul_f64 v[12:13], v[18:19], v[10:11]
	v_mul_f64 v[14:15], v[18:19], v[28:29]
	;; [unrolled: 1-line block ×4, first 2 shown]
	v_fmac_f64_e32 v[12:13], v[16:17], v[28:29]
	v_fma_f64 v[10:11], v[16:17], v[10:11], -v[14:15]
	v_fmac_f64_e32 v[18:19], v[20:21], v[30:31]
	v_fma_f64 v[14:15], v[20:21], v[8:9], -v[22:23]
	v_add_f64 v[8:9], v[26:27], v[12:13]
	v_add_f64 v[8:9], v[8:9], v[18:19]
	;; [unrolled: 1-line block ×3, first 2 shown]
	flat_store_dwordx4 v[24:25], v[8:11]
.LBB6_12:
	s_or_b64 exec, exec, s[2:3]
	s_andn2_b64 s[12:13], s[12:13], exec
.LBB6_13:
	s_or_b64 exec, exec, s[20:21]
	v_ashrrev_i32_e32 v1, 31, v0
	s_and_saveexec_b64 s[2:3], s[12:13]
	s_cbranch_execz .LBB6_15
; %bb.14:
	v_ashrrev_i32_e32 v12, 31, v7
	v_mul_lo_u32 v10, s15, v7
	v_mul_lo_u32 v11, s14, v12
	v_mad_u64_u32 v[8:9], s[12:13], s14, v7, 0
	v_add3_u32 v9, v9, v11, v10
	v_lshl_add_u64 v[8:9], v[8:9], 4, s[10:11]
	v_mul_lo_u32 v14, s7, v7
	v_mul_lo_u32 v15, s6, v12
	v_mad_u64_u32 v[12:13], s[12:13], s6, v7, 0
	flat_load_dwordx4 v[8:11], v[8:9]
	v_add3_u32 v13, v13, v15, v14
	v_lshl_add_u64 v[24:25], v[12:13], 4, s[8:9]
	flat_load_dwordx4 v[12:15], v[24:25]
	flat_load_dwordx4 v[16:19], v[2:3]
	;; [unrolled: 1-line block ×3, first 2 shown]
	v_lshl_add_u64 v[28:29], v[0:1], 4, s[4:5]
	flat_load_dwordx4 v[24:27], v[28:29]
	s_waitcnt vmcnt(0) lgkmcnt(0)
	v_mul_f64 v[30:31], s[18:19], v[10:11]
	v_mul_f64 v[10:11], s[16:17], v[10:11]
	;; [unrolled: 1-line block ×4, first 2 shown]
	v_fma_f64 v[30:31], s[16:17], v[8:9], -v[30:31]
	v_fmac_f64_e32 v[10:11], s[18:19], v[8:9]
	v_fmac_f64_e32 v[32:33], s[16:17], v[12:13]
	v_fma_f64 v[8:9], s[16:17], v[14:15], -v[34:35]
	v_mul_f64 v[12:13], v[18:19], v[10:11]
	v_mul_f64 v[14:15], v[18:19], v[30:31]
	;; [unrolled: 1-line block ×4, first 2 shown]
	v_fmac_f64_e32 v[12:13], v[16:17], v[30:31]
	v_fma_f64 v[10:11], v[16:17], v[10:11], -v[14:15]
	v_fmac_f64_e32 v[18:19], v[20:21], v[32:33]
	v_fma_f64 v[8:9], v[20:21], v[8:9], -v[22:23]
	v_add_f64 v[12:13], v[12:13], v[18:19]
	v_add_f64 v[10:11], v[10:11], v[8:9]
	;; [unrolled: 1-line block ×4, first 2 shown]
	flat_store_dwordx4 v[28:29], v[8:11]
.LBB6_15:
	s_or_b64 exec, exec, s[2:3]
	v_add_u32_e32 v7, 64, v7
	s_andn2_b64 vcc, exec, s[30:31]
	v_cmp_gt_i32_e64 s[2:3], s29, v7
	s_cbranch_vccnz .LBB6_17
; %bb.16:
	v_cmp_lt_i32_e32 vcc, v6, v7
	s_and_b64 s[2:3], s[2:3], vcc
	s_xor_b64 s[20:21], s[2:3], -1
	s_and_b64 s[2:3], s[2:3], exec
	s_and_b64 s[20:21], s[20:21], exec
	s_cbranch_execz .LBB6_18
	s_branch .LBB6_19
.LBB6_17:
	s_mov_b64 s[20:21], 0
	s_mov_b64 s[2:3], 0
.LBB6_18:
	v_cmp_ge_i32_e32 vcc, v7, v6
	s_xor_b64 s[0:1], s[0:1], -1
	s_or_b64 s[0:1], s[0:1], vcc
	s_andn2_b64 s[12:13], s[20:21], exec
	s_and_b64 s[0:1], s[0:1], exec
	s_or_b64 s[2:3], s[2:3], exec
	s_or_b64 s[20:21], s[12:13], s[0:1]
.LBB6_19:
	s_and_saveexec_b64 s[12:13], s[20:21]
	s_cbranch_execnz .LBB6_23
; %bb.20:
	s_or_b64 exec, exec, s[12:13]
	s_and_saveexec_b64 s[0:1], s[2:3]
	s_cbranch_execz .LBB6_22
.LBB6_21:
	v_ashrrev_i32_e32 v6, 31, v7
	v_mul_lo_u32 v10, s15, v7
	v_mul_lo_u32 v11, s14, v6
	v_mad_u64_u32 v[8:9], s[0:1], s14, v7, 0
	v_add3_u32 v9, v9, v11, v10
	v_lshl_add_u64 v[8:9], v[8:9], 4, s[10:11]
	v_mul_lo_u32 v12, s7, v7
	v_mul_lo_u32 v13, s6, v6
	v_mad_u64_u32 v[6:7], s[0:1], s6, v7, 0
	flat_load_dwordx4 v[8:11], v[8:9]
	v_add3_u32 v7, v7, v13, v12
	v_lshl_add_u64 v[6:7], v[6:7], 4, s[8:9]
	flat_load_dwordx4 v[12:15], v[6:7]
	flat_load_dwordx4 v[16:19], v[2:3]
	;; [unrolled: 1-line block ×3, first 2 shown]
	v_lshl_add_u64 v[4:5], v[0:1], 4, s[4:5]
	flat_load_dwordx4 v[0:3], v[4:5] offset:1024
	s_waitcnt vmcnt(0) lgkmcnt(0)
	v_mul_f64 v[6:7], s[18:19], v[10:11]
	v_mul_f64 v[10:11], s[16:17], v[10:11]
	;; [unrolled: 1-line block ×4, first 2 shown]
	v_fma_f64 v[6:7], s[16:17], v[8:9], -v[6:7]
	v_fmac_f64_e32 v[10:11], s[18:19], v[8:9]
	v_fmac_f64_e32 v[24:25], s[16:17], v[12:13]
	v_fma_f64 v[8:9], s[16:17], v[14:15], -v[26:27]
	v_mul_f64 v[12:13], v[18:19], v[10:11]
	v_mul_f64 v[14:15], v[18:19], v[6:7]
	;; [unrolled: 1-line block ×4, first 2 shown]
	v_fmac_f64_e32 v[12:13], v[16:17], v[6:7]
	v_fma_f64 v[6:7], v[16:17], v[10:11], -v[14:15]
	v_fmac_f64_e32 v[18:19], v[20:21], v[24:25]
	v_fma_f64 v[8:9], v[20:21], v[8:9], -v[22:23]
	v_add_f64 v[10:11], v[12:13], v[18:19]
	v_add_f64 v[6:7], v[6:7], v[8:9]
	;; [unrolled: 1-line block ×4, first 2 shown]
	flat_store_dwordx4 v[4:5], v[0:3] offset:1024
.LBB6_22:
	s_endpgm
.LBB6_23:
	v_cmp_eq_u32_e32 vcc, v7, v6
	v_cmp_gt_i32_e64 s[0:1], s29, v7
	s_and_b64 s[20:21], vcc, s[0:1]
	s_and_saveexec_b64 s[0:1], s[20:21]
	s_cbranch_execz .LBB6_25
; %bb.24:
	flat_load_dwordx4 v[8:11], v[4:5]
	flat_load_dwordx4 v[12:15], v[2:3]
	v_lshl_add_u64 v[16:17], v[0:1], 4, s[4:5]
	flat_load_dwordx2 v[18:19], v[16:17] offset:1024
	s_waitcnt vmcnt(0) lgkmcnt(0)
	v_mul_f64 v[22:23], s[16:17], v[10:11]
	v_mul_f64 v[20:21], s[18:19], v[10:11]
	;; [unrolled: 1-line block ×4, first 2 shown]
	v_fmac_f64_e32 v[22:23], s[18:19], v[8:9]
	v_fma_f64 v[20:21], s[16:17], v[8:9], -v[20:21]
	v_fmac_f64_e32 v[24:25], s[16:17], v[12:13]
	v_fma_f64 v[26:27], s[16:17], v[14:15], -v[26:27]
	v_mul_f64 v[28:29], v[14:15], v[22:23]
	v_mul_f64 v[14:15], v[14:15], v[20:21]
	;; [unrolled: 1-line block ×4, first 2 shown]
	v_fmac_f64_e32 v[28:29], v[12:13], v[20:21]
	v_fma_f64 v[12:13], v[12:13], v[22:23], -v[14:15]
	v_fmac_f64_e32 v[30:31], v[8:9], v[24:25]
	v_fma_f64 v[10:11], v[8:9], v[26:27], -v[10:11]
	v_add_f64 v[8:9], v[18:19], v[28:29]
	v_add_f64 v[8:9], v[8:9], v[30:31]
	v_add_f64 v[10:11], v[12:13], v[10:11]
	flat_store_dwordx4 v[16:17], v[8:11] offset:1024
.LBB6_25:
	s_or_b64 exec, exec, s[0:1]
	s_andn2_b64 s[2:3], s[2:3], exec
	s_or_b64 exec, exec, s[12:13]
	s_and_saveexec_b64 s[0:1], s[2:3]
	s_cbranch_execnz .LBB6_21
	s_branch .LBB6_22
	.section	.rodata,"a",@progbits
	.p2align	6, 0x0
	.amdhsa_kernel _ZL19rocblas_hpr2_kernelILi64ELi16ELi2EPK19rocblas_complex_numIdEPKS3_PKPS1_EvbiT2_T3_lllSA_lllT4_lli
		.amdhsa_group_segment_fixed_size 0
		.amdhsa_private_segment_fixed_size 0
		.amdhsa_kernarg_size 108
		.amdhsa_user_sgpr_count 2
		.amdhsa_user_sgpr_dispatch_ptr 0
		.amdhsa_user_sgpr_queue_ptr 0
		.amdhsa_user_sgpr_kernarg_segment_ptr 1
		.amdhsa_user_sgpr_dispatch_id 0
		.amdhsa_user_sgpr_kernarg_preload_length 0
		.amdhsa_user_sgpr_kernarg_preload_offset 0
		.amdhsa_user_sgpr_private_segment_size 0
		.amdhsa_uses_dynamic_stack 0
		.amdhsa_enable_private_segment 0
		.amdhsa_system_sgpr_workgroup_id_x 1
		.amdhsa_system_sgpr_workgroup_id_y 1
		.amdhsa_system_sgpr_workgroup_id_z 1
		.amdhsa_system_sgpr_workgroup_info 0
		.amdhsa_system_vgpr_workitem_id 1
		.amdhsa_next_free_vgpr 36
		.amdhsa_next_free_sgpr 36
		.amdhsa_accum_offset 36
		.amdhsa_reserve_vcc 1
		.amdhsa_float_round_mode_32 0
		.amdhsa_float_round_mode_16_64 0
		.amdhsa_float_denorm_mode_32 3
		.amdhsa_float_denorm_mode_16_64 3
		.amdhsa_dx10_clamp 1
		.amdhsa_ieee_mode 1
		.amdhsa_fp16_overflow 0
		.amdhsa_tg_split 0
		.amdhsa_exception_fp_ieee_invalid_op 0
		.amdhsa_exception_fp_denorm_src 0
		.amdhsa_exception_fp_ieee_div_zero 0
		.amdhsa_exception_fp_ieee_overflow 0
		.amdhsa_exception_fp_ieee_underflow 0
		.amdhsa_exception_fp_ieee_inexact 0
		.amdhsa_exception_int_div_zero 0
	.end_amdhsa_kernel
	.section	.text._ZL19rocblas_hpr2_kernelILi64ELi16ELi2EPK19rocblas_complex_numIdEPKS3_PKPS1_EvbiT2_T3_lllSA_lllT4_lli,"axG",@progbits,_ZL19rocblas_hpr2_kernelILi64ELi16ELi2EPK19rocblas_complex_numIdEPKS3_PKPS1_EvbiT2_T3_lllSA_lllT4_lli,comdat
.Lfunc_end6:
	.size	_ZL19rocblas_hpr2_kernelILi64ELi16ELi2EPK19rocblas_complex_numIdEPKS3_PKPS1_EvbiT2_T3_lllSA_lllT4_lli, .Lfunc_end6-_ZL19rocblas_hpr2_kernelILi64ELi16ELi2EPK19rocblas_complex_numIdEPKS3_PKPS1_EvbiT2_T3_lllSA_lllT4_lli
                                        ; -- End function
	.set _ZL19rocblas_hpr2_kernelILi64ELi16ELi2EPK19rocblas_complex_numIdEPKS3_PKPS1_EvbiT2_T3_lllSA_lllT4_lli.num_vgpr, 36
	.set _ZL19rocblas_hpr2_kernelILi64ELi16ELi2EPK19rocblas_complex_numIdEPKS3_PKPS1_EvbiT2_T3_lllSA_lllT4_lli.num_agpr, 0
	.set _ZL19rocblas_hpr2_kernelILi64ELi16ELi2EPK19rocblas_complex_numIdEPKS3_PKPS1_EvbiT2_T3_lllSA_lllT4_lli.numbered_sgpr, 36
	.set _ZL19rocblas_hpr2_kernelILi64ELi16ELi2EPK19rocblas_complex_numIdEPKS3_PKPS1_EvbiT2_T3_lllSA_lllT4_lli.num_named_barrier, 0
	.set _ZL19rocblas_hpr2_kernelILi64ELi16ELi2EPK19rocblas_complex_numIdEPKS3_PKPS1_EvbiT2_T3_lllSA_lllT4_lli.private_seg_size, 0
	.set _ZL19rocblas_hpr2_kernelILi64ELi16ELi2EPK19rocblas_complex_numIdEPKS3_PKPS1_EvbiT2_T3_lllSA_lllT4_lli.uses_vcc, 1
	.set _ZL19rocblas_hpr2_kernelILi64ELi16ELi2EPK19rocblas_complex_numIdEPKS3_PKPS1_EvbiT2_T3_lllSA_lllT4_lli.uses_flat_scratch, 0
	.set _ZL19rocblas_hpr2_kernelILi64ELi16ELi2EPK19rocblas_complex_numIdEPKS3_PKPS1_EvbiT2_T3_lllSA_lllT4_lli.has_dyn_sized_stack, 0
	.set _ZL19rocblas_hpr2_kernelILi64ELi16ELi2EPK19rocblas_complex_numIdEPKS3_PKPS1_EvbiT2_T3_lllSA_lllT4_lli.has_recursion, 0
	.set _ZL19rocblas_hpr2_kernelILi64ELi16ELi2EPK19rocblas_complex_numIdEPKS3_PKPS1_EvbiT2_T3_lllSA_lllT4_lli.has_indirect_call, 0
	.section	.AMDGPU.csdata,"",@progbits
; Kernel info:
; codeLenInByte = 1748
; TotalNumSgprs: 42
; NumVgprs: 36
; NumAgprs: 0
; TotalNumVgprs: 36
; ScratchSize: 0
; MemoryBound: 0
; FloatMode: 240
; IeeeMode: 1
; LDSByteSize: 0 bytes/workgroup (compile time only)
; SGPRBlocks: 5
; VGPRBlocks: 4
; NumSGPRsForWavesPerEU: 42
; NumVGPRsForWavesPerEU: 36
; AccumOffset: 36
; Occupancy: 8
; WaveLimiterHint : 1
; COMPUTE_PGM_RSRC2:SCRATCH_EN: 0
; COMPUTE_PGM_RSRC2:USER_SGPR: 2
; COMPUTE_PGM_RSRC2:TRAP_HANDLER: 0
; COMPUTE_PGM_RSRC2:TGID_X_EN: 1
; COMPUTE_PGM_RSRC2:TGID_Y_EN: 1
; COMPUTE_PGM_RSRC2:TGID_Z_EN: 1
; COMPUTE_PGM_RSRC2:TIDIG_COMP_CNT: 1
; COMPUTE_PGM_RSRC3_GFX90A:ACCUM_OFFSET: 8
; COMPUTE_PGM_RSRC3_GFX90A:TG_SPLIT: 0
	.section	.text._ZL19rocblas_hpr2_kernelILi64ELi16ELi2E19rocblas_complex_numIdEPKPKS1_PKPS1_EvbiT2_T3_lllSA_lllT4_lli,"axG",@progbits,_ZL19rocblas_hpr2_kernelILi64ELi16ELi2E19rocblas_complex_numIdEPKPKS1_PKPS1_EvbiT2_T3_lllSA_lllT4_lli,comdat
	.globl	_ZL19rocblas_hpr2_kernelILi64ELi16ELi2E19rocblas_complex_numIdEPKPKS1_PKPS1_EvbiT2_T3_lllSA_lllT4_lli ; -- Begin function _ZL19rocblas_hpr2_kernelILi64ELi16ELi2E19rocblas_complex_numIdEPKPKS1_PKPS1_EvbiT2_T3_lllSA_lllT4_lli
	.p2align	8
	.type	_ZL19rocblas_hpr2_kernelILi64ELi16ELi2E19rocblas_complex_numIdEPKPKS1_PKPS1_EvbiT2_T3_lllSA_lllT4_lli,@function
_ZL19rocblas_hpr2_kernelILi64ELi16ELi2E19rocblas_complex_numIdEPKPKS1_PKPS1_EvbiT2_T3_lllSA_lllT4_lli: ; @_ZL19rocblas_hpr2_kernelILi64ELi16ELi2E19rocblas_complex_numIdEPKPKS1_PKPS1_EvbiT2_T3_lllSA_lllT4_lli
; %bb.0:
	s_load_dwordx8 s[8:15], s[0:1], 0x8
	s_waitcnt lgkmcnt(0)
	v_cmp_neq_f64_e64 s[6:7], s[8:9], 0
	v_cmp_neq_f64_e64 s[16:17], s[10:11], 0
	s_or_b64 s[6:7], s[6:7], s[16:17]
	s_andn2_b64 vcc, exec, s[6:7]
	s_cbranch_vccnz .LBB7_22
; %bb.1:
	s_load_dwordx2 s[26:27], s[0:1], 0x0
	s_load_dwordx2 s[24:25], s[0:1], 0x28
	s_load_dwordx4 s[16:19], s[0:1], 0x38
	s_load_dwordx2 s[6:7], s[0:1], 0x48
	s_mov_b32 s5, 0
	v_and_b32_e32 v1, 0x3ff, v0
	s_waitcnt lgkmcnt(0)
	s_bitcmp1_b32 s26, 0
	s_cselect_b64 s[20:21], -1, 0
	s_xor_b64 s[28:29], s[20:21], -1
	s_load_dwordx4 s[20:23], s[0:1], 0x58
	s_lshl_b64 s[34:35], s[4:5], 3
	s_add_u32 s0, s12, s34
	s_addc_u32 s1, s13, s35
	s_add_u32 s4, s16, s34
	s_addc_u32 s5, s17, s35
	s_waitcnt lgkmcnt(0)
	s_add_u32 s12, s20, s34
	s_addc_u32 s13, s21, s35
	s_load_dwordx2 s[0:1], s[0:1], 0x0
	v_bfe_u32 v0, v0, 10, 10
	s_load_dwordx2 s[4:5], s[4:5], 0x0
	s_mov_b64 s[30:31], -1
	s_load_dwordx2 s[16:17], s[12:13], 0x0
	v_lshl_add_u32 v7, s2, 7, v1
	v_lshl_add_u32 v6, s3, 4, v0
	s_and_b64 vcc, exec, s[28:29]
                                        ; implicit-def: $vgpr0
	s_cbranch_vccz .LBB7_3
; %bb.2:
	s_lshl_b32 s2, s27, 1
	v_sub_u32_e32 v0, s2, v6
	v_mad_u64_u32 v[0:1], s[2:3], v6, v0, v[6:7]
	v_lshrrev_b32_e32 v1, 31, v0
	v_add_u32_e32 v0, v0, v1
	v_ashrrev_i32_e32 v0, 1, v0
	v_sub_u32_e32 v1, v7, v6
	v_add_u32_e32 v0, v1, v0
	s_mov_b64 s[30:31], 0
.LBB7_3:
	s_andn2_b64 vcc, exec, s[30:31]
	s_cbranch_vccnz .LBB7_5
; %bb.4:
	v_mad_u64_u32 v[0:1], s[2:3], v6, v6, v[6:7]
	v_lshrrev_b32_e32 v1, 31, v0
	v_add_u32_e32 v0, v0, v1
	v_ashrrev_i32_e32 v0, 1, v0
	v_add_u32_e32 v0, v0, v7
.LBB7_5:
	s_lshl_b64 s[2:3], s[14:15], 4
	s_waitcnt lgkmcnt(0)
	s_add_u32 s14, s0, s2
	s_addc_u32 s15, s1, s3
	s_lshl_b64 s[0:1], s[18:19], 4
	s_add_u32 s12, s4, s0
	v_ashrrev_i32_e32 v1, 31, v6
	s_addc_u32 s13, s5, s1
	s_lshl_b64 s[0:1], s[22:23], 4
	v_mul_lo_u32 v4, s7, v6
	v_mul_lo_u32 v5, s6, v1
	v_mad_u64_u32 v[2:3], s[2:3], s6, v6, 0
	s_add_u32 s4, s16, s0
	v_add3_u32 v3, v3, v5, v4
	v_mul_lo_u32 v4, s25, v6
	v_mul_lo_u32 v1, s24, v1
	v_mad_u64_u32 v[8:9], s[2:3], s24, v6, 0
	s_addc_u32 s5, s17, s1
	v_cmp_gt_i32_e64 s[0:1], s27, v6
	v_add3_u32 v9, v9, v1, v4
	s_and_b64 vcc, exec, s[28:29]
	s_cbranch_vccz .LBB7_7
; %bb.6:
	v_cmp_le_i32_e32 vcc, s27, v7
	v_cmp_le_i32_e64 s[2:3], v7, v6
	s_or_b64 s[2:3], s[2:3], vcc
	s_mov_b64 s[16:17], -1
	s_and_b64 s[2:3], s[2:3], exec
	s_cbranch_execz .LBB7_8
	s_branch .LBB7_9
.LBB7_7:
	s_mov_b64 s[2:3], 0
	s_mov_b64 s[16:17], 0
.LBB7_8:
	v_cmp_lt_i32_e32 vcc, v7, v6
	s_and_b64 s[18:19], vcc, s[0:1]
	s_xor_b64 s[20:21], s[18:19], -1
	s_andn2_b64 s[16:17], s[16:17], exec
	s_and_b64 s[18:19], s[18:19], exec
	s_or_b64 s[16:17], s[16:17], s[18:19]
	s_andn2_b64 s[2:3], s[2:3], exec
	s_and_b64 s[18:19], s[20:21], exec
	s_or_b64 s[2:3], s[2:3], s[18:19]
.LBB7_9:
	v_lshl_add_u64 v[4:5], v[2:3], 4, s[12:13]
	v_lshl_add_u64 v[2:3], v[8:9], 4, s[14:15]
	s_and_saveexec_b64 s[18:19], s[2:3]
	s_xor_b64 s[18:19], exec, s[18:19]
	s_cbranch_execz .LBB7_13
; %bb.10:
	v_cmp_eq_u32_e32 vcc, v7, v6
	v_cmp_gt_i32_e64 s[2:3], s27, v7
	s_and_b64 s[20:21], vcc, s[2:3]
	s_and_saveexec_b64 s[2:3], s[20:21]
	s_cbranch_execz .LBB7_12
; %bb.11:
	v_ashrrev_i32_e32 v1, 31, v7
	v_mul_lo_u32 v10, s25, v7
	v_mul_lo_u32 v11, s24, v1
	v_mad_u64_u32 v[8:9], s[20:21], s24, v7, 0
	v_add3_u32 v9, v9, v11, v10
	v_lshl_add_u64 v[8:9], v[8:9], 4, s[14:15]
	flat_load_dwordx4 v[8:11], v[8:9]
	v_mul_lo_u32 v14, s7, v7
	v_mul_lo_u32 v1, s6, v1
	v_mad_u64_u32 v[12:13], s[20:21], s6, v7, 0
	v_add3_u32 v13, v13, v1, v14
	v_lshl_add_u64 v[24:25], v[12:13], 4, s[12:13]
	v_ashrrev_i32_e32 v1, 31, v0
	flat_load_dwordx4 v[12:15], v[24:25]
	flat_load_dwordx4 v[16:19], v[4:5]
	;; [unrolled: 1-line block ×3, first 2 shown]
	v_lshl_add_u64 v[24:25], v[0:1], 4, s[4:5]
	flat_load_dwordx2 v[26:27], v[24:25]
	s_waitcnt vmcnt(0) lgkmcnt(0)
	v_mul_f64 v[28:29], s[10:11], v[10:11]
	v_mul_f64 v[10:11], s[8:9], v[10:11]
	v_fmac_f64_e32 v[10:11], s[10:11], v[8:9]
	v_fma_f64 v[28:29], s[8:9], v[8:9], -v[28:29]
	v_mul_f64 v[30:31], s[10:11], v[14:15]
	v_mul_f64 v[32:33], s[10:11], v[12:13]
	v_fmac_f64_e32 v[30:31], s[8:9], v[12:13]
	v_fma_f64 v[8:9], s[8:9], v[14:15], -v[32:33]
	v_mul_f64 v[12:13], v[18:19], v[10:11]
	v_mul_f64 v[14:15], v[18:19], v[28:29]
	;; [unrolled: 1-line block ×4, first 2 shown]
	v_fmac_f64_e32 v[12:13], v[16:17], v[28:29]
	v_fma_f64 v[10:11], v[16:17], v[10:11], -v[14:15]
	v_fmac_f64_e32 v[18:19], v[20:21], v[30:31]
	v_fma_f64 v[14:15], v[20:21], v[8:9], -v[22:23]
	v_add_f64 v[8:9], v[26:27], v[12:13]
	v_add_f64 v[8:9], v[8:9], v[18:19]
	;; [unrolled: 1-line block ×3, first 2 shown]
	flat_store_dwordx4 v[24:25], v[8:11]
.LBB7_12:
	s_or_b64 exec, exec, s[2:3]
	s_andn2_b64 s[16:17], s[16:17], exec
.LBB7_13:
	s_or_b64 exec, exec, s[18:19]
	v_ashrrev_i32_e32 v1, 31, v0
	s_and_saveexec_b64 s[2:3], s[16:17]
	s_cbranch_execz .LBB7_15
; %bb.14:
	v_ashrrev_i32_e32 v12, 31, v7
	v_mul_lo_u32 v10, s25, v7
	v_mul_lo_u32 v11, s24, v12
	v_mad_u64_u32 v[8:9], s[16:17], s24, v7, 0
	v_add3_u32 v9, v9, v11, v10
	v_lshl_add_u64 v[8:9], v[8:9], 4, s[14:15]
	v_mul_lo_u32 v14, s7, v7
	v_mul_lo_u32 v15, s6, v12
	v_mad_u64_u32 v[12:13], s[16:17], s6, v7, 0
	flat_load_dwordx4 v[8:11], v[8:9]
	v_add3_u32 v13, v13, v15, v14
	v_lshl_add_u64 v[24:25], v[12:13], 4, s[12:13]
	flat_load_dwordx4 v[12:15], v[24:25]
	flat_load_dwordx4 v[16:19], v[4:5]
	;; [unrolled: 1-line block ×3, first 2 shown]
	v_lshl_add_u64 v[28:29], v[0:1], 4, s[4:5]
	flat_load_dwordx4 v[24:27], v[28:29]
	s_waitcnt vmcnt(0) lgkmcnt(0)
	v_mul_f64 v[30:31], s[10:11], v[10:11]
	v_mul_f64 v[10:11], s[8:9], v[10:11]
	;; [unrolled: 1-line block ×4, first 2 shown]
	v_fma_f64 v[30:31], s[8:9], v[8:9], -v[30:31]
	v_fmac_f64_e32 v[10:11], s[10:11], v[8:9]
	v_fmac_f64_e32 v[32:33], s[8:9], v[12:13]
	v_fma_f64 v[8:9], s[8:9], v[14:15], -v[34:35]
	v_mul_f64 v[12:13], v[18:19], v[10:11]
	v_mul_f64 v[14:15], v[18:19], v[30:31]
	;; [unrolled: 1-line block ×4, first 2 shown]
	v_fmac_f64_e32 v[12:13], v[16:17], v[30:31]
	v_fma_f64 v[10:11], v[16:17], v[10:11], -v[14:15]
	v_fmac_f64_e32 v[18:19], v[20:21], v[32:33]
	v_fma_f64 v[8:9], v[20:21], v[8:9], -v[22:23]
	v_add_f64 v[12:13], v[12:13], v[18:19]
	v_add_f64 v[10:11], v[10:11], v[8:9]
	;; [unrolled: 1-line block ×4, first 2 shown]
	flat_store_dwordx4 v[28:29], v[8:11]
.LBB7_15:
	s_or_b64 exec, exec, s[2:3]
	v_add_u32_e32 v7, 64, v7
	s_andn2_b64 vcc, exec, s[28:29]
	v_cmp_gt_i32_e64 s[2:3], s27, v7
	s_cbranch_vccnz .LBB7_17
; %bb.16:
	v_cmp_lt_i32_e32 vcc, v6, v7
	s_and_b64 s[2:3], s[2:3], vcc
	s_xor_b64 s[18:19], s[2:3], -1
	s_and_b64 s[2:3], s[2:3], exec
	s_and_b64 s[18:19], s[18:19], exec
	s_cbranch_execz .LBB7_18
	s_branch .LBB7_19
.LBB7_17:
	s_mov_b64 s[18:19], 0
	s_mov_b64 s[2:3], 0
.LBB7_18:
	v_cmp_ge_i32_e32 vcc, v7, v6
	s_xor_b64 s[0:1], s[0:1], -1
	s_or_b64 s[0:1], s[0:1], vcc
	s_andn2_b64 s[16:17], s[18:19], exec
	s_and_b64 s[0:1], s[0:1], exec
	s_or_b64 s[2:3], s[2:3], exec
	s_or_b64 s[18:19], s[16:17], s[0:1]
.LBB7_19:
	s_and_saveexec_b64 s[16:17], s[18:19]
	s_cbranch_execnz .LBB7_23
; %bb.20:
	s_or_b64 exec, exec, s[16:17]
	s_and_saveexec_b64 s[0:1], s[2:3]
	s_cbranch_execz .LBB7_22
.LBB7_21:
	v_ashrrev_i32_e32 v6, 31, v7
	v_mul_lo_u32 v10, s25, v7
	v_mul_lo_u32 v11, s24, v6
	v_mad_u64_u32 v[8:9], s[0:1], s24, v7, 0
	v_add3_u32 v9, v9, v11, v10
	v_lshl_add_u64 v[8:9], v[8:9], 4, s[14:15]
	v_mul_lo_u32 v12, s7, v7
	v_mul_lo_u32 v13, s6, v6
	v_mad_u64_u32 v[6:7], s[0:1], s6, v7, 0
	flat_load_dwordx4 v[8:11], v[8:9]
	v_add3_u32 v7, v7, v13, v12
	v_lshl_add_u64 v[6:7], v[6:7], 4, s[12:13]
	flat_load_dwordx4 v[12:15], v[6:7]
	flat_load_dwordx4 v[16:19], v[4:5]
	;; [unrolled: 1-line block ×3, first 2 shown]
	v_lshl_add_u64 v[4:5], v[0:1], 4, s[4:5]
	flat_load_dwordx4 v[0:3], v[4:5] offset:1024
	s_waitcnt vmcnt(0) lgkmcnt(0)
	v_mul_f64 v[6:7], s[10:11], v[10:11]
	v_mul_f64 v[10:11], s[8:9], v[10:11]
	;; [unrolled: 1-line block ×4, first 2 shown]
	v_fma_f64 v[6:7], s[8:9], v[8:9], -v[6:7]
	v_fmac_f64_e32 v[10:11], s[10:11], v[8:9]
	v_fmac_f64_e32 v[24:25], s[8:9], v[12:13]
	v_fma_f64 v[8:9], s[8:9], v[14:15], -v[26:27]
	v_mul_f64 v[12:13], v[18:19], v[10:11]
	v_mul_f64 v[14:15], v[18:19], v[6:7]
	;; [unrolled: 1-line block ×4, first 2 shown]
	v_fmac_f64_e32 v[12:13], v[16:17], v[6:7]
	v_fma_f64 v[6:7], v[16:17], v[10:11], -v[14:15]
	v_fmac_f64_e32 v[18:19], v[20:21], v[24:25]
	v_fma_f64 v[8:9], v[20:21], v[8:9], -v[22:23]
	v_add_f64 v[10:11], v[12:13], v[18:19]
	v_add_f64 v[6:7], v[6:7], v[8:9]
	v_add_f64 v[0:1], v[0:1], v[10:11]
	v_add_f64 v[2:3], v[2:3], v[6:7]
	flat_store_dwordx4 v[4:5], v[0:3] offset:1024
.LBB7_22:
	s_endpgm
.LBB7_23:
	v_cmp_eq_u32_e32 vcc, v7, v6
	v_cmp_gt_i32_e64 s[0:1], s27, v7
	s_and_b64 s[18:19], vcc, s[0:1]
	s_and_saveexec_b64 s[0:1], s[18:19]
	s_cbranch_execz .LBB7_25
; %bb.24:
	flat_load_dwordx4 v[8:11], v[2:3]
	flat_load_dwordx4 v[12:15], v[4:5]
	v_lshl_add_u64 v[16:17], v[0:1], 4, s[4:5]
	flat_load_dwordx2 v[18:19], v[16:17] offset:1024
	s_waitcnt vmcnt(0) lgkmcnt(0)
	v_mul_f64 v[22:23], s[8:9], v[10:11]
	v_mul_f64 v[20:21], s[10:11], v[10:11]
	;; [unrolled: 1-line block ×4, first 2 shown]
	v_fmac_f64_e32 v[22:23], s[10:11], v[8:9]
	v_fma_f64 v[20:21], s[8:9], v[8:9], -v[20:21]
	v_fmac_f64_e32 v[24:25], s[8:9], v[12:13]
	v_fma_f64 v[26:27], s[8:9], v[14:15], -v[26:27]
	v_mul_f64 v[28:29], v[14:15], v[22:23]
	v_mul_f64 v[14:15], v[14:15], v[20:21]
	;; [unrolled: 1-line block ×4, first 2 shown]
	v_fmac_f64_e32 v[28:29], v[12:13], v[20:21]
	v_fma_f64 v[12:13], v[12:13], v[22:23], -v[14:15]
	v_fmac_f64_e32 v[30:31], v[8:9], v[24:25]
	v_fma_f64 v[10:11], v[8:9], v[26:27], -v[10:11]
	v_add_f64 v[8:9], v[18:19], v[28:29]
	v_add_f64 v[8:9], v[8:9], v[30:31]
	;; [unrolled: 1-line block ×3, first 2 shown]
	flat_store_dwordx4 v[16:17], v[8:11] offset:1024
.LBB7_25:
	s_or_b64 exec, exec, s[0:1]
	s_andn2_b64 s[2:3], s[2:3], exec
	s_or_b64 exec, exec, s[16:17]
	s_and_saveexec_b64 s[0:1], s[2:3]
	s_cbranch_execnz .LBB7_21
	s_branch .LBB7_22
	.section	.rodata,"a",@progbits
	.p2align	6, 0x0
	.amdhsa_kernel _ZL19rocblas_hpr2_kernelILi64ELi16ELi2E19rocblas_complex_numIdEPKPKS1_PKPS1_EvbiT2_T3_lllSA_lllT4_lli
		.amdhsa_group_segment_fixed_size 0
		.amdhsa_private_segment_fixed_size 0
		.amdhsa_kernarg_size 116
		.amdhsa_user_sgpr_count 2
		.amdhsa_user_sgpr_dispatch_ptr 0
		.amdhsa_user_sgpr_queue_ptr 0
		.amdhsa_user_sgpr_kernarg_segment_ptr 1
		.amdhsa_user_sgpr_dispatch_id 0
		.amdhsa_user_sgpr_kernarg_preload_length 0
		.amdhsa_user_sgpr_kernarg_preload_offset 0
		.amdhsa_user_sgpr_private_segment_size 0
		.amdhsa_uses_dynamic_stack 0
		.amdhsa_enable_private_segment 0
		.amdhsa_system_sgpr_workgroup_id_x 1
		.amdhsa_system_sgpr_workgroup_id_y 1
		.amdhsa_system_sgpr_workgroup_id_z 1
		.amdhsa_system_sgpr_workgroup_info 0
		.amdhsa_system_vgpr_workitem_id 1
		.amdhsa_next_free_vgpr 36
		.amdhsa_next_free_sgpr 36
		.amdhsa_accum_offset 36
		.amdhsa_reserve_vcc 1
		.amdhsa_float_round_mode_32 0
		.amdhsa_float_round_mode_16_64 0
		.amdhsa_float_denorm_mode_32 3
		.amdhsa_float_denorm_mode_16_64 3
		.amdhsa_dx10_clamp 1
		.amdhsa_ieee_mode 1
		.amdhsa_fp16_overflow 0
		.amdhsa_tg_split 0
		.amdhsa_exception_fp_ieee_invalid_op 0
		.amdhsa_exception_fp_denorm_src 0
		.amdhsa_exception_fp_ieee_div_zero 0
		.amdhsa_exception_fp_ieee_overflow 0
		.amdhsa_exception_fp_ieee_underflow 0
		.amdhsa_exception_fp_ieee_inexact 0
		.amdhsa_exception_int_div_zero 0
	.end_amdhsa_kernel
	.section	.text._ZL19rocblas_hpr2_kernelILi64ELi16ELi2E19rocblas_complex_numIdEPKPKS1_PKPS1_EvbiT2_T3_lllSA_lllT4_lli,"axG",@progbits,_ZL19rocblas_hpr2_kernelILi64ELi16ELi2E19rocblas_complex_numIdEPKPKS1_PKPS1_EvbiT2_T3_lllSA_lllT4_lli,comdat
.Lfunc_end7:
	.size	_ZL19rocblas_hpr2_kernelILi64ELi16ELi2E19rocblas_complex_numIdEPKPKS1_PKPS1_EvbiT2_T3_lllSA_lllT4_lli, .Lfunc_end7-_ZL19rocblas_hpr2_kernelILi64ELi16ELi2E19rocblas_complex_numIdEPKPKS1_PKPS1_EvbiT2_T3_lllSA_lllT4_lli
                                        ; -- End function
	.set _ZL19rocblas_hpr2_kernelILi64ELi16ELi2E19rocblas_complex_numIdEPKPKS1_PKPS1_EvbiT2_T3_lllSA_lllT4_lli.num_vgpr, 36
	.set _ZL19rocblas_hpr2_kernelILi64ELi16ELi2E19rocblas_complex_numIdEPKPKS1_PKPS1_EvbiT2_T3_lllSA_lllT4_lli.num_agpr, 0
	.set _ZL19rocblas_hpr2_kernelILi64ELi16ELi2E19rocblas_complex_numIdEPKPKS1_PKPS1_EvbiT2_T3_lllSA_lllT4_lli.numbered_sgpr, 36
	.set _ZL19rocblas_hpr2_kernelILi64ELi16ELi2E19rocblas_complex_numIdEPKPKS1_PKPS1_EvbiT2_T3_lllSA_lllT4_lli.num_named_barrier, 0
	.set _ZL19rocblas_hpr2_kernelILi64ELi16ELi2E19rocblas_complex_numIdEPKPKS1_PKPS1_EvbiT2_T3_lllSA_lllT4_lli.private_seg_size, 0
	.set _ZL19rocblas_hpr2_kernelILi64ELi16ELi2E19rocblas_complex_numIdEPKPKS1_PKPS1_EvbiT2_T3_lllSA_lllT4_lli.uses_vcc, 1
	.set _ZL19rocblas_hpr2_kernelILi64ELi16ELi2E19rocblas_complex_numIdEPKPKS1_PKPS1_EvbiT2_T3_lllSA_lllT4_lli.uses_flat_scratch, 0
	.set _ZL19rocblas_hpr2_kernelILi64ELi16ELi2E19rocblas_complex_numIdEPKPKS1_PKPS1_EvbiT2_T3_lllSA_lllT4_lli.has_dyn_sized_stack, 0
	.set _ZL19rocblas_hpr2_kernelILi64ELi16ELi2E19rocblas_complex_numIdEPKPKS1_PKPS1_EvbiT2_T3_lllSA_lllT4_lli.has_recursion, 0
	.set _ZL19rocblas_hpr2_kernelILi64ELi16ELi2E19rocblas_complex_numIdEPKPKS1_PKPS1_EvbiT2_T3_lllSA_lllT4_lli.has_indirect_call, 0
	.section	.AMDGPU.csdata,"",@progbits
; Kernel info:
; codeLenInByte = 1748
; TotalNumSgprs: 42
; NumVgprs: 36
; NumAgprs: 0
; TotalNumVgprs: 36
; ScratchSize: 0
; MemoryBound: 0
; FloatMode: 240
; IeeeMode: 1
; LDSByteSize: 0 bytes/workgroup (compile time only)
; SGPRBlocks: 5
; VGPRBlocks: 4
; NumSGPRsForWavesPerEU: 42
; NumVGPRsForWavesPerEU: 36
; AccumOffset: 36
; Occupancy: 8
; WaveLimiterHint : 1
; COMPUTE_PGM_RSRC2:SCRATCH_EN: 0
; COMPUTE_PGM_RSRC2:USER_SGPR: 2
; COMPUTE_PGM_RSRC2:TRAP_HANDLER: 0
; COMPUTE_PGM_RSRC2:TGID_X_EN: 1
; COMPUTE_PGM_RSRC2:TGID_Y_EN: 1
; COMPUTE_PGM_RSRC2:TGID_Z_EN: 1
; COMPUTE_PGM_RSRC2:TIDIG_COMP_CNT: 1
; COMPUTE_PGM_RSRC3_GFX90A:ACCUM_OFFSET: 8
; COMPUTE_PGM_RSRC3_GFX90A:TG_SPLIT: 0
	.section	.AMDGPU.gpr_maximums,"",@progbits
	.set amdgpu.max_num_vgpr, 0
	.set amdgpu.max_num_agpr, 0
	.set amdgpu.max_num_sgpr, 0
	.section	.AMDGPU.csdata,"",@progbits
	.type	__hip_cuid_57e9a883921f0692,@object ; @__hip_cuid_57e9a883921f0692
	.section	.bss,"aw",@nobits
	.globl	__hip_cuid_57e9a883921f0692
__hip_cuid_57e9a883921f0692:
	.byte	0                               ; 0x0
	.size	__hip_cuid_57e9a883921f0692, 1

	.ident	"AMD clang version 22.0.0git (https://github.com/RadeonOpenCompute/llvm-project roc-7.2.4 26084 f58b06dce1f9c15707c5f808fd002e18c2accf7e)"
	.section	".note.GNU-stack","",@progbits
	.addrsig
	.addrsig_sym __hip_cuid_57e9a883921f0692
	.amdgpu_metadata
---
amdhsa.kernels:
  - .agpr_count:     0
    .args:
      - .offset:         0
        .size:           1
        .value_kind:     by_value
      - .offset:         4
        .size:           4
        .value_kind:     by_value
      - .address_space:  global
        .offset:         8
        .size:           8
        .value_kind:     global_buffer
      - .address_space:  global
        .offset:         16
        .size:           8
        .value_kind:     global_buffer
      - .offset:         24
        .size:           8
        .value_kind:     by_value
      - .offset:         32
        .size:           8
        .value_kind:     by_value
      - .offset:         40
        .size:           8
        .value_kind:     by_value
      - .address_space:  global
        .offset:         48
        .size:           8
        .value_kind:     global_buffer
      - .offset:         56
        .size:           8
        .value_kind:     by_value
      - .offset:         64
        .size:           8
        .value_kind:     by_value
      - .offset:         72
        .size:           8
        .value_kind:     by_value
      - .address_space:  global
        .offset:         80
        .size:           8
        .value_kind:     global_buffer
      - .offset:         88
        .size:           8
        .value_kind:     by_value
      - .offset:         96
        .size:           8
        .value_kind:     by_value
      - .offset:         104
        .size:           4
        .value_kind:     by_value
    .group_segment_fixed_size: 0
    .kernarg_segment_align: 8
    .kernarg_segment_size: 108
    .language:       OpenCL C
    .language_version:
      - 2
      - 0
    .max_flat_workgroup_size: 1024
    .name:           _ZL19rocblas_hpr2_kernelILi64ELi16ELi2EPK19rocblas_complex_numIfES3_PS1_EvbiT2_T3_lllS6_lllT4_lli
    .private_segment_fixed_size: 0
    .sgpr_count:     50
    .sgpr_spill_count: 0
    .symbol:         _ZL19rocblas_hpr2_kernelILi64ELi16ELi2EPK19rocblas_complex_numIfES3_PS1_EvbiT2_T3_lllS6_lllT4_lli.kd
    .uniform_work_group_size: 1
    .uses_dynamic_stack: false
    .vgpr_count:     26
    .vgpr_spill_count: 0
    .wavefront_size: 64
  - .agpr_count:     0
    .args:
      - .offset:         0
        .size:           1
        .value_kind:     by_value
      - .offset:         4
        .size:           4
        .value_kind:     by_value
      - .offset:         8
        .size:           8
        .value_kind:     by_value
      - .address_space:  global
        .offset:         16
        .size:           8
        .value_kind:     global_buffer
      - .offset:         24
        .size:           8
        .value_kind:     by_value
      - .offset:         32
        .size:           8
        .value_kind:     by_value
      - .offset:         40
        .size:           8
        .value_kind:     by_value
      - .address_space:  global
        .offset:         48
        .size:           8
        .value_kind:     global_buffer
      - .offset:         56
        .size:           8
        .value_kind:     by_value
      - .offset:         64
        .size:           8
        .value_kind:     by_value
      - .offset:         72
        .size:           8
        .value_kind:     by_value
      - .address_space:  global
        .offset:         80
        .size:           8
        .value_kind:     global_buffer
      - .offset:         88
        .size:           8
        .value_kind:     by_value
      - .offset:         96
        .size:           8
        .value_kind:     by_value
      - .offset:         104
        .size:           4
        .value_kind:     by_value
    .group_segment_fixed_size: 0
    .kernarg_segment_align: 8
    .kernarg_segment_size: 108
    .language:       OpenCL C
    .language_version:
      - 2
      - 0
    .max_flat_workgroup_size: 1024
    .name:           _ZL19rocblas_hpr2_kernelILi64ELi16ELi2E19rocblas_complex_numIfEPKS1_PS1_EvbiT2_T3_lllS6_lllT4_lli
    .private_segment_fixed_size: 0
    .sgpr_count:     46
    .sgpr_spill_count: 0
    .symbol:         _ZL19rocblas_hpr2_kernelILi64ELi16ELi2E19rocblas_complex_numIfEPKS1_PS1_EvbiT2_T3_lllS6_lllT4_lli.kd
    .uniform_work_group_size: 1
    .uses_dynamic_stack: false
    .vgpr_count:     26
    .vgpr_spill_count: 0
    .wavefront_size: 64
  - .agpr_count:     0
    .args:
      - .offset:         0
        .size:           1
        .value_kind:     by_value
      - .offset:         4
        .size:           4
        .value_kind:     by_value
      - .address_space:  global
        .offset:         8
        .size:           8
        .value_kind:     global_buffer
      - .address_space:  global
        .offset:         16
        .size:           8
        .value_kind:     global_buffer
      - .offset:         24
        .size:           8
        .value_kind:     by_value
      - .offset:         32
        .size:           8
        .value_kind:     by_value
      - .offset:         40
        .size:           8
        .value_kind:     by_value
      - .address_space:  global
        .offset:         48
        .size:           8
        .value_kind:     global_buffer
      - .offset:         56
        .size:           8
        .value_kind:     by_value
      - .offset:         64
        .size:           8
        .value_kind:     by_value
      - .offset:         72
        .size:           8
        .value_kind:     by_value
      - .address_space:  global
        .offset:         80
        .size:           8
        .value_kind:     global_buffer
      - .offset:         88
        .size:           8
        .value_kind:     by_value
      - .offset:         96
        .size:           8
        .value_kind:     by_value
      - .offset:         104
        .size:           4
        .value_kind:     by_value
    .group_segment_fixed_size: 0
    .kernarg_segment_align: 8
    .kernarg_segment_size: 108
    .language:       OpenCL C
    .language_version:
      - 2
      - 0
    .max_flat_workgroup_size: 1024
    .name:           _ZL19rocblas_hpr2_kernelILi64ELi16ELi2EPK19rocblas_complex_numIdES3_PS1_EvbiT2_T3_lllS6_lllT4_lli
    .private_segment_fixed_size: 0
    .sgpr_count:     50
    .sgpr_spill_count: 0
    .symbol:         _ZL19rocblas_hpr2_kernelILi64ELi16ELi2EPK19rocblas_complex_numIdES3_PS1_EvbiT2_T3_lllS6_lllT4_lli.kd
    .uniform_work_group_size: 1
    .uses_dynamic_stack: false
    .vgpr_count:     36
    .vgpr_spill_count: 0
    .wavefront_size: 64
  - .agpr_count:     0
    .args:
      - .offset:         0
        .size:           1
        .value_kind:     by_value
      - .offset:         4
        .size:           4
        .value_kind:     by_value
      - .offset:         8
        .size:           16
        .value_kind:     by_value
      - .address_space:  global
        .offset:         24
        .size:           8
        .value_kind:     global_buffer
      - .offset:         32
        .size:           8
        .value_kind:     by_value
      - .offset:         40
        .size:           8
        .value_kind:     by_value
      - .offset:         48
        .size:           8
        .value_kind:     by_value
      - .address_space:  global
        .offset:         56
        .size:           8
        .value_kind:     global_buffer
      - .offset:         64
        .size:           8
        .value_kind:     by_value
      - .offset:         72
        .size:           8
        .value_kind:     by_value
      - .offset:         80
        .size:           8
        .value_kind:     by_value
      - .address_space:  global
        .offset:         88
        .size:           8
        .value_kind:     global_buffer
      - .offset:         96
        .size:           8
        .value_kind:     by_value
      - .offset:         104
        .size:           8
        .value_kind:     by_value
      - .offset:         112
        .size:           4
        .value_kind:     by_value
    .group_segment_fixed_size: 0
    .kernarg_segment_align: 8
    .kernarg_segment_size: 116
    .language:       OpenCL C
    .language_version:
      - 2
      - 0
    .max_flat_workgroup_size: 1024
    .name:           _ZL19rocblas_hpr2_kernelILi64ELi16ELi2E19rocblas_complex_numIdEPKS1_PS1_EvbiT2_T3_lllS6_lllT4_lli
    .private_segment_fixed_size: 0
    .sgpr_count:     44
    .sgpr_spill_count: 0
    .symbol:         _ZL19rocblas_hpr2_kernelILi64ELi16ELi2E19rocblas_complex_numIdEPKS1_PS1_EvbiT2_T3_lllS6_lllT4_lli.kd
    .uniform_work_group_size: 1
    .uses_dynamic_stack: false
    .vgpr_count:     36
    .vgpr_spill_count: 0
    .wavefront_size: 64
  - .agpr_count:     0
    .args:
      - .offset:         0
        .size:           1
        .value_kind:     by_value
      - .offset:         4
        .size:           4
        .value_kind:     by_value
      - .address_space:  global
        .offset:         8
        .size:           8
        .value_kind:     global_buffer
      - .address_space:  global
        .offset:         16
        .size:           8
        .value_kind:     global_buffer
      - .offset:         24
        .size:           8
        .value_kind:     by_value
      - .offset:         32
        .size:           8
        .value_kind:     by_value
      - .offset:         40
        .size:           8
        .value_kind:     by_value
      - .address_space:  global
        .offset:         48
        .size:           8
        .value_kind:     global_buffer
      - .offset:         56
        .size:           8
        .value_kind:     by_value
      - .offset:         64
        .size:           8
        .value_kind:     by_value
      - .offset:         72
        .size:           8
        .value_kind:     by_value
      - .address_space:  global
        .offset:         80
        .size:           8
        .value_kind:     global_buffer
      - .offset:         88
        .size:           8
        .value_kind:     by_value
      - .offset:         96
        .size:           8
        .value_kind:     by_value
      - .offset:         104
        .size:           4
        .value_kind:     by_value
    .group_segment_fixed_size: 0
    .kernarg_segment_align: 8
    .kernarg_segment_size: 108
    .language:       OpenCL C
    .language_version:
      - 2
      - 0
    .max_flat_workgroup_size: 1024
    .name:           _ZL19rocblas_hpr2_kernelILi64ELi16ELi2EPK19rocblas_complex_numIfEPKS3_PKPS1_EvbiT2_T3_lllSA_lllT4_lli
    .private_segment_fixed_size: 0
    .sgpr_count:     38
    .sgpr_spill_count: 0
    .symbol:         _ZL19rocblas_hpr2_kernelILi64ELi16ELi2EPK19rocblas_complex_numIfEPKS3_PKPS1_EvbiT2_T3_lllSA_lllT4_lli.kd
    .uniform_work_group_size: 1
    .uses_dynamic_stack: false
    .vgpr_count:     26
    .vgpr_spill_count: 0
    .wavefront_size: 64
  - .agpr_count:     0
    .args:
      - .offset:         0
        .size:           1
        .value_kind:     by_value
      - .offset:         4
        .size:           4
        .value_kind:     by_value
      - .offset:         8
        .size:           8
        .value_kind:     by_value
      - .address_space:  global
        .offset:         16
        .size:           8
        .value_kind:     global_buffer
      - .offset:         24
        .size:           8
        .value_kind:     by_value
      - .offset:         32
        .size:           8
        .value_kind:     by_value
      - .offset:         40
        .size:           8
        .value_kind:     by_value
      - .address_space:  global
        .offset:         48
        .size:           8
        .value_kind:     global_buffer
      - .offset:         56
        .size:           8
        .value_kind:     by_value
      - .offset:         64
        .size:           8
        .value_kind:     by_value
      - .offset:         72
        .size:           8
        .value_kind:     by_value
      - .address_space:  global
        .offset:         80
        .size:           8
        .value_kind:     global_buffer
      - .offset:         88
        .size:           8
        .value_kind:     by_value
      - .offset:         96
        .size:           8
        .value_kind:     by_value
      - .offset:         104
        .size:           4
        .value_kind:     by_value
    .group_segment_fixed_size: 0
    .kernarg_segment_align: 8
    .kernarg_segment_size: 108
    .language:       OpenCL C
    .language_version:
      - 2
      - 0
    .max_flat_workgroup_size: 1024
    .name:           _ZL19rocblas_hpr2_kernelILi64ELi16ELi2E19rocblas_complex_numIfEPKPKS1_PKPS1_EvbiT2_T3_lllSA_lllT4_lli
    .private_segment_fixed_size: 0
    .sgpr_count:     38
    .sgpr_spill_count: 0
    .symbol:         _ZL19rocblas_hpr2_kernelILi64ELi16ELi2E19rocblas_complex_numIfEPKPKS1_PKPS1_EvbiT2_T3_lllSA_lllT4_lli.kd
    .uniform_work_group_size: 1
    .uses_dynamic_stack: false
    .vgpr_count:     26
    .vgpr_spill_count: 0
    .wavefront_size: 64
  - .agpr_count:     0
    .args:
      - .offset:         0
        .size:           1
        .value_kind:     by_value
      - .offset:         4
        .size:           4
        .value_kind:     by_value
      - .address_space:  global
        .offset:         8
        .size:           8
        .value_kind:     global_buffer
      - .address_space:  global
        .offset:         16
        .size:           8
        .value_kind:     global_buffer
      - .offset:         24
        .size:           8
        .value_kind:     by_value
      - .offset:         32
        .size:           8
        .value_kind:     by_value
      - .offset:         40
        .size:           8
        .value_kind:     by_value
      - .address_space:  global
        .offset:         48
        .size:           8
        .value_kind:     global_buffer
      - .offset:         56
        .size:           8
        .value_kind:     by_value
      - .offset:         64
        .size:           8
        .value_kind:     by_value
      - .offset:         72
        .size:           8
        .value_kind:     by_value
      - .address_space:  global
        .offset:         80
        .size:           8
        .value_kind:     global_buffer
      - .offset:         88
        .size:           8
        .value_kind:     by_value
      - .offset:         96
        .size:           8
        .value_kind:     by_value
      - .offset:         104
        .size:           4
        .value_kind:     by_value
    .group_segment_fixed_size: 0
    .kernarg_segment_align: 8
    .kernarg_segment_size: 108
    .language:       OpenCL C
    .language_version:
      - 2
      - 0
    .max_flat_workgroup_size: 1024
    .name:           _ZL19rocblas_hpr2_kernelILi64ELi16ELi2EPK19rocblas_complex_numIdEPKS3_PKPS1_EvbiT2_T3_lllSA_lllT4_lli
    .private_segment_fixed_size: 0
    .sgpr_count:     42
    .sgpr_spill_count: 0
    .symbol:         _ZL19rocblas_hpr2_kernelILi64ELi16ELi2EPK19rocblas_complex_numIdEPKS3_PKPS1_EvbiT2_T3_lllSA_lllT4_lli.kd
    .uniform_work_group_size: 1
    .uses_dynamic_stack: false
    .vgpr_count:     36
    .vgpr_spill_count: 0
    .wavefront_size: 64
  - .agpr_count:     0
    .args:
      - .offset:         0
        .size:           1
        .value_kind:     by_value
      - .offset:         4
        .size:           4
        .value_kind:     by_value
      - .offset:         8
        .size:           16
        .value_kind:     by_value
      - .address_space:  global
        .offset:         24
        .size:           8
        .value_kind:     global_buffer
      - .offset:         32
        .size:           8
        .value_kind:     by_value
      - .offset:         40
        .size:           8
        .value_kind:     by_value
      - .offset:         48
        .size:           8
        .value_kind:     by_value
      - .address_space:  global
        .offset:         56
        .size:           8
        .value_kind:     global_buffer
      - .offset:         64
        .size:           8
        .value_kind:     by_value
      - .offset:         72
        .size:           8
        .value_kind:     by_value
      - .offset:         80
        .size:           8
        .value_kind:     by_value
      - .address_space:  global
        .offset:         88
        .size:           8
        .value_kind:     global_buffer
      - .offset:         96
        .size:           8
        .value_kind:     by_value
      - .offset:         104
        .size:           8
        .value_kind:     by_value
      - .offset:         112
        .size:           4
        .value_kind:     by_value
    .group_segment_fixed_size: 0
    .kernarg_segment_align: 8
    .kernarg_segment_size: 116
    .language:       OpenCL C
    .language_version:
      - 2
      - 0
    .max_flat_workgroup_size: 1024
    .name:           _ZL19rocblas_hpr2_kernelILi64ELi16ELi2E19rocblas_complex_numIdEPKPKS1_PKPS1_EvbiT2_T3_lllSA_lllT4_lli
    .private_segment_fixed_size: 0
    .sgpr_count:     42
    .sgpr_spill_count: 0
    .symbol:         _ZL19rocblas_hpr2_kernelILi64ELi16ELi2E19rocblas_complex_numIdEPKPKS1_PKPS1_EvbiT2_T3_lllSA_lllT4_lli.kd
    .uniform_work_group_size: 1
    .uses_dynamic_stack: false
    .vgpr_count:     36
    .vgpr_spill_count: 0
    .wavefront_size: 64
amdhsa.target:   amdgcn-amd-amdhsa--gfx950
amdhsa.version:
  - 1
  - 2
...

	.end_amdgpu_metadata
